;; amdgpu-corpus repo=ROCm/rocFFT kind=compiled arch=gfx1100 opt=O3
	.text
	.amdgcn_target "amdgcn-amd-amdhsa--gfx1100"
	.amdhsa_code_object_version 6
	.protected	bluestein_single_back_len1625_dim1_dp_op_CI_CI ; -- Begin function bluestein_single_back_len1625_dim1_dp_op_CI_CI
	.globl	bluestein_single_back_len1625_dim1_dp_op_CI_CI
	.p2align	8
	.type	bluestein_single_back_len1625_dim1_dp_op_CI_CI,@function
bluestein_single_back_len1625_dim1_dp_op_CI_CI: ; @bluestein_single_back_len1625_dim1_dp_op_CI_CI
; %bb.0:
	s_load_b128 s[16:19], s[0:1], 0x28
	v_mul_u32_u24_e32 v1, 0x3f1, v0
	v_mov_b32_e32 v10, 0
	s_mov_b32 s2, exec_lo
	s_delay_alu instid0(VALU_DEP_2) | instskip(NEXT) | instid1(VALU_DEP_1)
	v_lshrrev_b32_e32 v3, 16, v1
	v_lshl_add_u32 v9, s15, 1, v3
	s_waitcnt lgkmcnt(0)
	s_delay_alu instid0(VALU_DEP_1)
	v_cmpx_gt_u64_e64 s[16:17], v[9:10]
	s_cbranch_execz .LBB0_15
; %bb.1:
	s_clause 0x1
	s_load_b128 s[4:7], s[0:1], 0x18
	s_load_b64 s[2:3], s[0:1], 0x0
	v_mul_lo_u16 v1, 0x41, v3
	v_and_b32_e32 v3, 1, v3
	v_mov_b32_e32 v7, v9
	s_delay_alu instid0(VALU_DEP_3) | instskip(NEXT) | instid1(VALU_DEP_1)
	v_sub_nc_u16 v2, v0, v1
	v_and_b32_e32 v231, 0xffff, v2
	s_delay_alu instid0(VALU_DEP_1)
	v_lshlrev_b32_e32 v4, 4, v231
	s_waitcnt lgkmcnt(0)
	s_load_b128 s[8:11], s[4:5], 0x0
	s_clause 0x2
	global_load_b128 v[113:116], v4, s[2:3]
	global_load_b128 v[117:120], v4, s[2:3] offset:2000
	global_load_b128 v[109:112], v4, s[2:3] offset:4000
	v_add_co_u32 v124, s4, s2, v4
	scratch_store_b64 off, v[7:8], off offset:56 ; 8-byte Folded Spill
	v_add_co_ci_u32_e64 v125, null, s3, 0, s4
	v_add_co_u32 v17, vcc_lo, 0x1000, v124
	s_delay_alu instid0(VALU_DEP_2)
	v_add_co_ci_u32_e32 v18, vcc_lo, 0, v125, vcc_lo
	v_add_co_u32 v13, vcc_lo, 0x2000, v124
	v_add_co_ci_u32_e32 v14, vcc_lo, 0, v125, vcc_lo
	v_add_co_u32 v15, vcc_lo, 0x3000, v124
	v_add_co_ci_u32_e32 v16, vcc_lo, 0, v125, vcc_lo
	s_waitcnt lgkmcnt(0)
	v_mad_u64_u32 v[0:1], null, s10, v9, 0
	v_mad_u64_u32 v[5:6], null, s8, v231, 0
	v_add_co_u32 v11, vcc_lo, 0x4000, v124
	v_add_co_ci_u32_e32 v12, vcc_lo, 0, v125, vcc_lo
	s_delay_alu instid0(VALU_DEP_4) | instskip(NEXT) | instid1(VALU_DEP_4)
	v_mad_u64_u32 v[7:8], null, s11, v9, v[1:2]
	v_mov_b32_e32 v1, v6
	v_add_co_u32 v53, vcc_lo, 0x5000, v124
	v_add_co_ci_u32_e32 v54, vcc_lo, 0, v125, vcc_lo
	s_delay_alu instid0(VALU_DEP_3)
	v_mad_u64_u32 v[8:9], null, s9, v231, v[1:2]
	v_mov_b32_e32 v1, v7
	s_mul_i32 s3, s9, 0x7d
	s_mul_hi_u32 s4, s8, 0x7d
	s_mul_i32 s2, s8, 0x7d
	s_add_i32 s3, s4, s3
	v_lshlrev_b64 v[0:1], 4, v[0:1]
	s_delay_alu instid0(VALU_DEP_3)
	v_mov_b32_e32 v6, v8
	s_lshl_b64 s[12:13], s[2:3], 4
	s_clause 0x3
	scratch_store_b64 off, v[17:18], off offset:48
	scratch_store_b64 off, v[13:14], off offset:40
	scratch_store_b64 off, v[15:16], off offset:32
	scratch_store_b64 off, v[11:12], off offset:24
	v_lshlrev_b64 v[5:6], 4, v[5:6]
	v_add_co_u32 v0, vcc_lo, s18, v0
	v_add_co_ci_u32_e32 v1, vcc_lo, s19, v1, vcc_lo
	s_clause 0x1
	global_load_b128 v[154:157], v[13:14], off offset:1808
	global_load_b128 v[146:149], v[13:14], off offset:3808
	v_add_co_u32 v0, vcc_lo, v0, v5
	v_add_co_ci_u32_e32 v1, vcc_lo, v1, v6, vcc_lo
	s_clause 0x1
	global_load_b128 v[150:153], v[17:18], off offset:1904
	global_load_b128 v[138:141], v[17:18], off offset:3904
	;; [unrolled: 5-line block ×4, first 2 shown]
	v_add_co_u32 v17, vcc_lo, v13, s12
	v_add_co_ci_u32_e32 v18, vcc_lo, s13, v14, vcc_lo
	s_clause 0x1
	global_load_b128 v[5:8], v[0:1], off
	global_load_b128 v[9:12], v[9:10], off
	v_add_co_u32 v21, vcc_lo, v17, s12
	v_add_co_ci_u32_e32 v22, vcc_lo, s13, v18, vcc_lo
	s_clause 0x1
	global_load_b128 v[13:16], v[13:14], off
	global_load_b128 v[17:20], v[17:18], off
	v_add_co_u32 v0, vcc_lo, v21, s12
	v_add_co_ci_u32_e32 v1, vcc_lo, s13, v22, vcc_lo
	global_load_b128 v[21:24], v[21:22], off
	v_add_co_u32 v29, vcc_lo, v0, s12
	v_add_co_ci_u32_e32 v30, vcc_lo, s13, v1, vcc_lo
	global_load_b128 v[25:28], v[0:1], off
	v_add_co_u32 v33, vcc_lo, v29, s12
	v_add_co_ci_u32_e32 v34, vcc_lo, s13, v30, vcc_lo
	global_load_b128 v[29:32], v[29:30], off
	v_add_co_u32 v0, vcc_lo, v33, s12
	v_add_co_ci_u32_e32 v1, vcc_lo, s13, v34, vcc_lo
	global_load_b128 v[33:36], v[33:34], off
	v_add_co_u32 v41, vcc_lo, v0, s12
	v_add_co_ci_u32_e32 v42, vcc_lo, s13, v1, vcc_lo
	global_load_b128 v[37:40], v[0:1], off
	v_add_co_u32 v45, vcc_lo, v41, s12
	v_add_co_ci_u32_e32 v46, vcc_lo, s13, v42, vcc_lo
	global_load_b128 v[41:44], v[41:42], off
	v_add_co_u32 v49, vcc_lo, v45, s12
	v_add_co_ci_u32_e32 v50, vcc_lo, s13, v46, vcc_lo
	s_delay_alu instid0(VALU_DEP_2) | instskip(NEXT) | instid1(VALU_DEP_2)
	v_add_co_u32 v0, vcc_lo, v49, s12
	v_add_co_ci_u32_e32 v1, vcc_lo, s13, v50, vcc_lo
	global_load_b128 v[45:48], v[45:46], off
	global_load_b128 v[49:52], v[49:50], off
	global_load_b128 v[162:165], v[53:54], off offset:1520
	scratch_store_b64 off, v[53:54], off offset:16 ; 8-byte Folded Spill
	global_load_b128 v[158:161], v[53:54], off offset:3520
	global_load_b128 v[53:56], v[0:1], off
	v_cmp_eq_u32_e32 vcc_lo, 1, v3
	v_cndmask_b32_e64 v3, 0, 0x659, vcc_lo
	v_cmp_gt_u16_e32 vcc_lo, 60, v2
	s_delay_alu instid0(VALU_DEP_2) | instskip(NEXT) | instid1(VALU_DEP_1)
	v_lshlrev_b32_e32 v232, 4, v3
	v_add_nc_u32_e32 v168, v232, v4
	s_waitcnt vmcnt(25)
	scratch_store_b128 off, v[113:116], off offset:84 ; 16-byte Folded Spill
	s_waitcnt vmcnt(24)
	scratch_store_b128 off, v[117:120], off offset:100 ; 16-byte Folded Spill
	;; [unrolled: 2-line block ×11, first 2 shown]
	s_waitcnt vmcnt(14)
	v_mul_f64 v[57:58], v[7:8], v[115:116]
	v_mul_f64 v[59:60], v[5:6], v[115:116]
	s_waitcnt vmcnt(13)
	v_mul_f64 v[61:62], v[11:12], v[119:120]
	v_mul_f64 v[63:64], v[9:10], v[119:120]
	;; [unrolled: 3-line block ×10, first 2 shown]
	v_fma_f64 v[5:6], v[5:6], v[113:114], v[57:58]
	v_fma_f64 v[7:8], v[7:8], v[113:114], -v[59:60]
	v_fma_f64 v[9:10], v[9:10], v[117:118], v[61:62]
	v_fma_f64 v[11:12], v[11:12], v[117:118], -v[63:64]
	v_fma_f64 v[13:14], v[13:14], v[109:110], v[65:66]
	s_waitcnt vmcnt(4)
	v_mul_f64 v[97:98], v[47:48], v[128:129]
	v_mul_f64 v[99:100], v[45:46], v[128:129]
	s_waitcnt vmcnt(2)
	v_mul_f64 v[101:102], v[51:52], v[164:165]
	v_mul_f64 v[103:104], v[49:50], v[164:165]
	;; [unrolled: 3-line block ×3, first 2 shown]
	v_fma_f64 v[15:16], v[15:16], v[109:110], -v[67:68]
	v_fma_f64 v[17:18], v[17:18], v[150:151], v[69:70]
	v_fma_f64 v[19:20], v[19:20], v[150:151], -v[71:72]
	v_fma_f64 v[21:22], v[21:22], v[138:139], v[73:74]
	;; [unrolled: 2-line block ×3, first 2 shown]
	v_fma_f64 v[27:28], v[27:28], v[154:155], -v[79:80]
	s_clause 0x1
	scratch_store_b128 off, v[162:165], off offset:260
	scratch_store_b128 off, v[158:161], off offset:244
	v_fma_f64 v[29:30], v[29:30], v[146:147], v[81:82]
	v_fma_f64 v[31:32], v[31:32], v[146:147], -v[83:84]
	s_load_b64 s[10:11], s[0:1], 0x38
	s_load_b128 s[4:7], s[6:7], 0x0
	v_fma_f64 v[33:34], v[33:34], v[142:143], v[85:86]
	v_fma_f64 v[35:36], v[35:36], v[142:143], -v[87:88]
	ds_store_b128 v168, v[5:8]
	ds_store_b128 v168, v[9:12] offset:2000
	ds_store_b128 v168, v[13:16] offset:4000
	;; [unrolled: 1-line block ×7, first 2 shown]
	v_fma_f64 v[37:38], v[37:38], v[134:135], v[89:90]
	v_fma_f64 v[39:40], v[39:40], v[134:135], -v[91:92]
	v_fma_f64 v[41:42], v[41:42], v[130:131], v[93:94]
	v_fma_f64 v[43:44], v[43:44], v[130:131], -v[95:96]
	;; [unrolled: 2-line block ×5, first 2 shown]
	ds_store_b128 v168, v[37:40] offset:16000
	ds_store_b128 v168, v[41:44] offset:18000
	;; [unrolled: 1-line block ×5, first 2 shown]
	s_and_saveexec_b32 s3, vcc_lo
	s_cbranch_execz .LBB0_3
; %bb.2:
	v_mad_u64_u32 v[20:21], null, 0xffffa650, s8, v[0:1]
	s_clause 0x1
	global_load_b128 v[0:3], v[124:125], off offset:1040
	global_load_b128 v[4:7], v[124:125], off offset:3040
	scratch_load_b64 v[12:13], off, off offset:48 ; 8-byte Folded Reload
	s_mul_i32 s2, s9, 0xffffa650
	s_delay_alu instid0(SALU_CYCLE_1) | instskip(NEXT) | instid1(SALU_CYCLE_1)
	s_sub_i32 s2, s2, s8
	v_add_nc_u32_e32 v21, s2, v21
	v_add_co_u32 v24, s2, v20, s12
	s_delay_alu instid0(VALU_DEP_1) | instskip(NEXT) | instid1(VALU_DEP_2)
	v_add_co_ci_u32_e64 v25, s2, s13, v21, s2
	v_add_co_u32 v28, s2, v24, s12
	s_delay_alu instid0(VALU_DEP_1) | instskip(NEXT) | instid1(VALU_DEP_2)
	v_add_co_ci_u32_e64 v29, s2, s13, v25, s2
	;; [unrolled: 3-line block ×10, first 2 shown]
	v_add_co_u32 v88, s2, v84, s12
	s_delay_alu instid0(VALU_DEP_1) | instskip(SKIP_1) | instid1(VALU_DEP_1)
	v_add_co_ci_u32_e64 v89, s2, s13, v85, s2
	v_add_co_u32 v96, s2, 0x6000, v124
	v_add_co_ci_u32_e64 v97, s2, 0, v125, s2
	s_delay_alu instid0(VALU_DEP_4) | instskip(NEXT) | instid1(VALU_DEP_1)
	v_add_co_u32 v100, s2, v88, s12
	v_add_co_ci_u32_e64 v101, s2, s13, v89, s2
	s_waitcnt vmcnt(0)
	s_clause 0x1
	global_load_b128 v[8:11], v[12:13], off offset:944
	global_load_b128 v[12:15], v[12:13], off offset:2944
	scratch_load_b64 v[50:51], off, off offset:40 ; 8-byte Folded Reload
	global_load_b128 v[20:23], v[20:21], off
	global_load_b128 v[24:27], v[24:25], off
	s_waitcnt vmcnt(2)
	global_load_b128 v[16:19], v[50:51], off offset:848
	global_load_b128 v[28:31], v[28:29], off
	global_load_b128 v[32:35], v[32:33], off
	;; [unrolled: 1-line block ×5, first 2 shown]
	global_load_b128 v[48:51], v[50:51], off offset:2848
	scratch_load_b64 v[64:65], off, off offset:32 ; 8-byte Folded Reload
	global_load_b128 v[56:59], v[56:57], off
	global_load_b128 v[60:63], v[60:61], off
	s_waitcnt vmcnt(11)
	v_mul_f64 v[104:105], v[22:23], v[2:3]
	v_mul_f64 v[2:3], v[20:21], v[2:3]
	s_waitcnt vmcnt(10)
	v_mul_f64 v[106:107], v[26:27], v[6:7]
	v_mul_f64 v[6:7], v[24:25], v[6:7]
	s_waitcnt vmcnt(8)
	v_mul_f64 v[108:109], v[30:31], v[10:11]
	v_mul_f64 v[10:11], v[28:29], v[10:11]
	s_waitcnt vmcnt(7)
	v_mul_f64 v[110:111], v[34:35], v[14:15]
	v_mul_f64 v[14:15], v[32:33], v[14:15]
	s_waitcnt vmcnt(6)
	v_mul_f64 v[112:113], v[38:39], v[18:19]
	s_waitcnt vmcnt(2)
	s_clause 0x1
	global_load_b128 v[52:55], v[64:65], off offset:752
	global_load_b128 v[64:67], v[64:65], off offset:2752
	scratch_load_b64 v[76:77], off, off offset:24 ; 8-byte Folded Reload
	v_mul_f64 v[114:115], v[36:37], v[18:19]
	v_mul_f64 v[116:117], v[42:43], v[50:51]
	;; [unrolled: 1-line block ×3, first 2 shown]
	v_fma_f64 v[18:19], v[20:21], v[0:1], v[104:105]
	v_fma_f64 v[20:21], v[22:23], v[0:1], -v[2:3]
	v_fma_f64 v[0:1], v[24:25], v[4:5], v[106:107]
	v_fma_f64 v[2:3], v[26:27], v[4:5], -v[6:7]
	s_waitcnt vmcnt(0)
	global_load_b128 v[68:71], v[76:77], off offset:656
	global_load_b128 v[72:75], v[72:73], off
	global_load_b128 v[76:79], v[76:77], off offset:2656
	global_load_b128 v[80:83], v[84:85], off
	scratch_load_b64 v[92:93], off, off offset:16 ; 8-byte Folded Reload
	v_mul_f64 v[118:119], v[46:47], v[54:55]
	v_mul_f64 v[54:55], v[44:45], v[54:55]
	;; [unrolled: 1-line block ×4, first 2 shown]
	v_fma_f64 v[4:5], v[28:29], v[8:9], v[108:109]
	v_fma_f64 v[6:7], v[30:31], v[8:9], -v[10:11]
	v_fma_f64 v[8:9], v[32:33], v[12:13], v[110:111]
	v_fma_f64 v[10:11], v[34:35], v[12:13], -v[14:15]
	;; [unrolled: 2-line block ×4, first 2 shown]
	s_waitcnt vmcnt(0)
	global_load_b128 v[84:87], v[92:93], off offset:560
	global_load_b128 v[88:91], v[88:89], off
	s_clause 0x1
	global_load_b128 v[92:95], v[92:93], off offset:2560
	global_load_b128 v[96:99], v[96:97], off offset:464
	global_load_b128 v[100:103], v[100:101], off
	v_mul_f64 v[122:123], v[62:63], v[70:71]
	v_mul_f64 v[70:71], v[60:61], v[70:71]
	v_mul_f64 v[126:127], v[74:75], v[78:79]
	v_mul_f64 v[78:79], v[72:73], v[78:79]
	v_fma_f64 v[26:27], v[44:45], v[52:53], v[118:119]
	v_fma_f64 v[28:29], v[46:47], v[52:53], -v[54:55]
	v_fma_f64 v[30:31], v[56:57], v[64:65], v[120:121]
	v_fma_f64 v[32:33], v[58:59], v[64:65], -v[66:67]
	;; [unrolled: 2-line block ×4, first 2 shown]
	s_waitcnt vmcnt(4)
	v_mul_f64 v[128:129], v[82:83], v[86:87]
	v_mul_f64 v[86:87], v[80:81], v[86:87]
	s_waitcnt vmcnt(2)
	v_mul_f64 v[130:131], v[90:91], v[94:95]
	v_mul_f64 v[94:95], v[88:89], v[94:95]
	;; [unrolled: 3-line block ×3, first 2 shown]
	v_fma_f64 v[42:43], v[80:81], v[84:85], v[128:129]
	v_fma_f64 v[44:45], v[82:83], v[84:85], -v[86:87]
	v_fma_f64 v[46:47], v[88:89], v[92:93], v[130:131]
	v_fma_f64 v[48:49], v[90:91], v[92:93], -v[94:95]
	;; [unrolled: 2-line block ×3, first 2 shown]
	ds_store_b128 v168, v[18:21] offset:1040
	ds_store_b128 v168, v[0:3] offset:3040
	;; [unrolled: 1-line block ×13, first 2 shown]
.LBB0_3:
	s_or_b32 exec_lo, exec_lo, s3
	s_waitcnt lgkmcnt(0)
	s_waitcnt_vscnt null, 0x0
	s_barrier
	buffer_gl0_inv
	ds_load_b128 v[52:55], v168
	ds_load_b128 v[60:63], v168 offset:2000
	ds_load_b128 v[64:67], v168 offset:4000
	;; [unrolled: 1-line block ×12, first 2 shown]
	s_load_b64 s[2:3], s[0:1], 0x8
                                        ; implicit-def: $vgpr16_vgpr17
                                        ; implicit-def: $vgpr36_vgpr37
                                        ; implicit-def: $vgpr40_vgpr41
                                        ; implicit-def: $vgpr48_vgpr49
                                        ; implicit-def: $vgpr44_vgpr45
                                        ; implicit-def: $vgpr32_vgpr33
                                        ; implicit-def: $vgpr28_vgpr29
                                        ; implicit-def: $vgpr24_vgpr25
                                        ; implicit-def: $vgpr20_vgpr21
                                        ; implicit-def: $vgpr12_vgpr13
                                        ; implicit-def: $vgpr8_vgpr9
                                        ; implicit-def: $vgpr4_vgpr5
                                        ; implicit-def: $vgpr0_vgpr1
	s_and_saveexec_b32 s0, vcc_lo
	s_cbranch_execz .LBB0_5
; %bb.4:
	ds_load_b128 v[16:19], v168 offset:1040
	ds_load_b128 v[36:39], v168 offset:3040
	;; [unrolled: 1-line block ×13, first 2 shown]
.LBB0_5:
	s_or_b32 exec_lo, exec_lo, s0
	s_waitcnt lgkmcnt(0)
	v_add_f64 v[104:105], v[52:53], v[60:61]
	v_add_f64 v[106:107], v[54:55], v[62:63]
	v_add_f64 v[108:109], v[100:101], -v[96:97]
	v_add_f64 v[110:111], v[102:103], -v[98:99]
	s_mov_b32 s20, 0x4267c47c
	s_mov_b32 s28, 0x42a4c3d2
	;; [unrolled: 1-line block ×34, first 2 shown]
	v_add_f64 v[104:105], v[104:105], v[64:65]
	v_add_f64 v[106:107], v[106:107], v[66:67]
	s_mov_b32 s45, 0x3fea55e2
	v_mul_f64 v[158:159], v[110:111], s[30:31]
	v_mul_f64 v[185:186], v[110:111], s[42:43]
	v_mul_f64 v[197:198], v[110:111], s[24:25]
	s_mov_b32 s44, s28
	v_mul_f64 v[229:230], v[110:111], s[26:27]
	v_mul_f64 v[213:214], v[110:111], s[44:45]
	;; [unrolled: 1-line block ×3, first 2 shown]
	v_add_f64 v[104:105], v[104:105], v[68:69]
	v_add_f64 v[106:107], v[106:107], v[70:71]
	s_delay_alu instid0(VALU_DEP_2) | instskip(NEXT) | instid1(VALU_DEP_2)
	v_add_f64 v[104:105], v[104:105], v[80:81]
	v_add_f64 v[106:107], v[106:107], v[82:83]
	s_delay_alu instid0(VALU_DEP_2) | instskip(NEXT) | instid1(VALU_DEP_2)
	;; [unrolled: 3-line block ×3, first 2 shown]
	v_add_f64 v[104:105], v[104:105], v[100:101]
	v_add_f64 v[106:107], v[106:107], v[102:103]
	;; [unrolled: 1-line block ×4, first 2 shown]
	s_delay_alu instid0(VALU_DEP_4) | instskip(NEXT) | instid1(VALU_DEP_4)
	v_add_f64 v[96:97], v[104:105], v[96:97]
	v_add_f64 v[98:99], v[106:107], v[98:99]
	;; [unrolled: 1-line block ×4, first 2 shown]
	v_add_f64 v[88:89], v[88:89], -v[92:93]
	v_add_f64 v[90:91], v[90:91], -v[94:95]
	v_add_f64 v[92:93], v[96:97], v[92:93]
	v_add_f64 v[94:95], v[98:99], v[94:95]
	;; [unrolled: 1-line block ×4, first 2 shown]
	v_add_f64 v[80:81], v[80:81], -v[84:85]
	v_add_f64 v[82:83], v[82:83], -v[86:87]
	v_mul_f64 v[181:182], v[90:91], s[38:39]
	v_mul_f64 v[183:184], v[88:89], s[38:39]
	;; [unrolled: 1-line block ×8, first 2 shown]
	v_add_f64 v[84:85], v[92:93], v[84:85]
	v_add_f64 v[86:87], v[94:95], v[86:87]
	;; [unrolled: 1-line block ×4, first 2 shown]
	v_add_f64 v[68:69], v[68:69], -v[76:77]
	v_add_f64 v[70:71], v[70:71], -v[78:79]
	v_mul_f64 v[179:180], v[80:81], s[34:35]
	v_mul_f64 v[189:190], v[82:83], s[42:43]
	;; [unrolled: 1-line block ×7, first 2 shown]
	v_add_f64 v[76:77], v[84:85], v[76:77]
	v_add_f64 v[78:79], v[86:87], v[78:79]
	;; [unrolled: 1-line block ×4, first 2 shown]
	v_add_f64 v[64:65], v[64:65], -v[72:73]
	v_add_f64 v[66:67], v[66:67], -v[74:75]
	v_mul_f64 v[177:178], v[70:71], s[36:37]
	v_mul_f64 v[187:188], v[68:69], s[36:37]
	;; [unrolled: 1-line block ×6, first 2 shown]
	v_add_f64 v[72:73], v[76:77], v[72:73]
	v_add_f64 v[74:75], v[78:79], v[74:75]
	v_add_f64 v[76:77], v[62:63], -v[58:59]
	v_add_f64 v[78:79], v[60:61], v[56:57]
	v_add_f64 v[62:63], v[62:63], v[58:59]
	v_add_f64 v[60:61], v[60:61], -v[56:57]
	v_mul_f64 v[175:176], v[64:65], s[30:31]
	v_mul_f64 v[173:174], v[66:67], s[34:35]
	;; [unrolled: 1-line block ×5, first 2 shown]
	v_add_f64 v[126:127], v[72:73], v[56:57]
	v_add_f64 v[128:129], v[74:75], v[58:59]
	v_mul_f64 v[56:57], v[76:77], s[20:21]
	v_mul_f64 v[58:59], v[76:77], s[28:29]
	v_mul_f64 v[72:73], v[76:77], s[22:23]
	v_mul_f64 v[74:75], v[76:77], s[26:27]
	v_mul_f64 v[112:113], v[76:77], s[24:25]
	v_mul_f64 v[76:77], v[76:77], s[30:31]
	v_mul_f64 v[132:133], v[60:61], s[28:29]
	v_mul_f64 v[134:135], v[60:61], s[22:23]
	v_mul_f64 v[136:137], v[60:61], s[26:27]
	v_mul_f64 v[138:139], v[60:61], s[24:25]
	v_fma_f64 v[114:115], v[78:79], s[18:19], -v[56:57]
	v_fma_f64 v[56:57], v[78:79], s[18:19], v[56:57]
	v_fma_f64 v[116:117], v[78:79], s[14:15], -v[58:59]
	v_fma_f64 v[58:59], v[78:79], s[14:15], v[58:59]
	v_fma_f64 v[118:119], v[78:79], s[16:17], -v[72:73]
	v_fma_f64 v[72:73], v[78:79], s[16:17], v[72:73]
	v_fma_f64 v[120:121], v[78:79], s[12:13], -v[74:75]
	v_fma_f64 v[74:75], v[78:79], s[12:13], v[74:75]
	v_fma_f64 v[122:123], v[78:79], s[8:9], -v[112:113]
	v_fma_f64 v[112:113], v[78:79], s[8:9], v[112:113]
	v_fma_f64 v[130:131], v[78:79], s[0:1], -v[76:77]
	v_fma_f64 v[76:77], v[78:79], s[0:1], v[76:77]
	v_mul_f64 v[78:79], v[60:61], s[20:21]
	v_mul_f64 v[60:61], v[60:61], s[30:31]
	v_fma_f64 v[142:143], v[62:63], s[14:15], v[132:133]
	v_fma_f64 v[132:133], v[62:63], s[14:15], -v[132:133]
	v_fma_f64 v[144:145], v[62:63], s[16:17], v[134:135]
	v_fma_f64 v[134:135], v[62:63], s[16:17], -v[134:135]
	;; [unrolled: 2-line block ×4, first 2 shown]
	v_add_f64 v[56:57], v[52:53], v[56:57]
	v_add_f64 v[116:117], v[52:53], v[116:117]
	;; [unrolled: 1-line block ×10, first 2 shown]
	v_fma_f64 v[140:141], v[62:63], s[18:19], v[78:79]
	v_fma_f64 v[78:79], v[62:63], s[18:19], -v[78:79]
	v_fma_f64 v[150:151], v[62:63], s[0:1], v[60:61]
	v_fma_f64 v[60:61], v[62:63], s[0:1], -v[60:61]
	v_add_f64 v[62:63], v[52:53], v[114:115]
	v_add_f64 v[166:167], v[54:55], v[132:133]
	;; [unrolled: 1-line block ×8, first 2 shown]
	v_mul_f64 v[134:135], v[70:71], s[22:23]
	v_mul_f64 v[136:137], v[68:69], s[22:23]
	;; [unrolled: 1-line block ×5, first 2 shown]
	v_add_f64 v[114:115], v[54:55], v[140:141]
	v_add_f64 v[78:79], v[54:55], v[78:79]
	;; [unrolled: 1-line block ×6, first 2 shown]
	v_mul_f64 v[60:61], v[66:67], s[28:29]
	v_mul_f64 v[144:145], v[80:81], s[26:27]
	;; [unrolled: 1-line block ×5, first 2 shown]
	v_fma_f64 v[76:77], v[84:85], s[14:15], -v[60:61]
	v_fma_f64 v[60:61], v[84:85], s[14:15], v[60:61]
	s_delay_alu instid0(VALU_DEP_2) | instskip(SKIP_1) | instid1(VALU_DEP_3)
	v_add_f64 v[62:63], v[76:77], v[62:63]
	v_mul_f64 v[76:77], v[64:65], s[28:29]
	v_add_f64 v[56:57], v[60:61], v[56:57]
	s_delay_alu instid0(VALU_DEP_2) | instskip(SKIP_2) | instid1(VALU_DEP_3)
	v_fma_f64 v[130:131], v[86:87], s[14:15], v[76:77]
	v_fma_f64 v[60:61], v[86:87], s[14:15], -v[76:77]
	v_fma_f64 v[76:77], v[92:93], s[16:17], v[134:135]
	v_add_f64 v[114:115], v[130:131], v[114:115]
	v_fma_f64 v[130:131], v[92:93], s[16:17], -v[134:135]
	s_delay_alu instid0(VALU_DEP_4) | instskip(NEXT) | instid1(VALU_DEP_4)
	v_add_f64 v[60:61], v[60:61], v[78:79]
	v_add_f64 v[56:57], v[76:77], v[56:57]
	v_fma_f64 v[76:77], v[94:95], s[16:17], -v[136:137]
	v_mul_f64 v[78:79], v[70:71], s[30:31]
	v_mul_f64 v[70:71], v[70:71], s[24:25]
	v_add_f64 v[62:63], v[130:131], v[62:63]
	v_fma_f64 v[130:131], v[94:95], s[16:17], v[136:137]
	v_add_f64 v[60:61], v[76:77], v[60:61]
	v_fma_f64 v[76:77], v[96:97], s[12:13], v[138:139]
	s_delay_alu instid0(VALU_DEP_3) | instskip(SKIP_1) | instid1(VALU_DEP_3)
	v_add_f64 v[114:115], v[130:131], v[114:115]
	v_fma_f64 v[130:131], v[96:97], s[12:13], -v[138:139]
	v_add_f64 v[56:57], v[76:77], v[56:57]
	v_fma_f64 v[76:77], v[98:99], s[12:13], -v[144:145]
	s_delay_alu instid0(VALU_DEP_3) | instskip(SKIP_1) | instid1(VALU_DEP_3)
	v_add_f64 v[62:63], v[130:131], v[62:63]
	v_fma_f64 v[130:131], v[98:99], s[12:13], v[144:145]
	v_add_f64 v[60:61], v[76:77], v[60:61]
	v_fma_f64 v[76:77], v[104:105], s[8:9], v[148:149]
	s_delay_alu instid0(VALU_DEP_3) | instskip(SKIP_1) | instid1(VALU_DEP_3)
	v_add_f64 v[114:115], v[130:131], v[114:115]
	v_fma_f64 v[130:131], v[104:105], s[8:9], -v[148:149]
	v_add_f64 v[56:57], v[76:77], v[56:57]
	v_fma_f64 v[76:77], v[106:107], s[8:9], -v[150:151]
	s_delay_alu instid0(VALU_DEP_3) | instskip(SKIP_1) | instid1(VALU_DEP_3)
	v_add_f64 v[62:63], v[130:131], v[62:63]
	v_fma_f64 v[130:131], v[106:107], s[8:9], v[150:151]
	v_add_f64 v[60:61], v[76:77], v[60:61]
	v_fma_f64 v[76:77], v[100:101], s[0:1], v[158:159]
	s_delay_alu instid0(VALU_DEP_3) | instskip(SKIP_1) | instid1(VALU_DEP_3)
	v_add_f64 v[114:115], v[130:131], v[114:115]
	v_fma_f64 v[130:131], v[100:101], s[0:1], -v[158:159]
	v_add_f64 v[134:135], v[76:77], v[56:57]
	v_mul_f64 v[56:57], v[66:67], s[26:27]
	s_delay_alu instid0(VALU_DEP_3) | instskip(SKIP_1) | instid1(VALU_DEP_1)
	v_add_f64 v[130:131], v[130:131], v[62:63]
	v_mul_f64 v[62:63], v[108:109], s[30:31]
	v_fma_f64 v[132:133], v[102:103], s[0:1], v[62:63]
	v_fma_f64 v[62:63], v[102:103], s[0:1], -v[62:63]
	s_delay_alu instid0(VALU_DEP_2) | instskip(NEXT) | instid1(VALU_DEP_2)
	v_add_f64 v[132:133], v[132:133], v[114:115]
	v_add_f64 v[136:137], v[62:63], v[60:61]
	v_fma_f64 v[60:61], v[84:85], s[12:13], -v[56:57]
	v_mul_f64 v[62:63], v[64:65], s[26:27]
	v_fma_f64 v[114:115], v[92:93], s[0:1], -v[78:79]
	v_mul_f64 v[64:65], v[64:65], s[42:43]
	s_delay_alu instid0(VALU_DEP_4) | instskip(NEXT) | instid1(VALU_DEP_4)
	v_add_f64 v[60:61], v[60:61], v[116:117]
	v_fma_f64 v[76:77], v[86:87], s[12:13], v[62:63]
	s_delay_alu instid0(VALU_DEP_2) | instskip(SKIP_1) | instid1(VALU_DEP_3)
	v_add_f64 v[60:61], v[114:115], v[60:61]
	v_mul_f64 v[114:115], v[68:69], s[30:31]
	v_add_f64 v[76:77], v[76:77], v[140:141]
	v_mul_f64 v[68:69], v[68:69], s[24:25]
	s_delay_alu instid0(VALU_DEP_3) | instskip(NEXT) | instid1(VALU_DEP_1)
	v_fma_f64 v[116:117], v[94:95], s[0:1], v[114:115]
	v_add_f64 v[76:77], v[116:117], v[76:77]
	v_mul_f64 v[116:117], v[82:83], s[34:35]
	v_mul_f64 v[82:83], v[82:83], s[44:45]
	s_delay_alu instid0(VALU_DEP_2) | instskip(NEXT) | instid1(VALU_DEP_1)
	v_fma_f64 v[138:139], v[96:97], s[8:9], -v[116:117]
	v_add_f64 v[60:61], v[138:139], v[60:61]
	v_fma_f64 v[138:139], v[98:99], s[8:9], v[179:180]
	s_delay_alu instid0(VALU_DEP_1) | instskip(SKIP_1) | instid1(VALU_DEP_1)
	v_add_f64 v[76:77], v[138:139], v[76:77]
	v_fma_f64 v[138:139], v[104:105], s[16:17], -v[181:182]
	v_add_f64 v[60:61], v[138:139], v[60:61]
	v_fma_f64 v[138:139], v[106:107], s[16:17], v[183:184]
	s_delay_alu instid0(VALU_DEP_1) | instskip(SKIP_1) | instid1(VALU_DEP_1)
	v_add_f64 v[76:77], v[138:139], v[76:77]
	v_fma_f64 v[138:139], v[100:101], s[18:19], -v[185:186]
	v_add_f64 v[138:139], v[138:139], v[60:61]
	v_mul_f64 v[60:61], v[108:109], s[42:43]
	s_delay_alu instid0(VALU_DEP_1) | instskip(NEXT) | instid1(VALU_DEP_1)
	v_fma_f64 v[140:141], v[102:103], s[18:19], v[60:61]
	v_add_f64 v[140:141], v[140:141], v[76:77]
	v_mul_f64 v[76:77], v[66:67], s[30:31]
	v_mul_f64 v[66:67], v[66:67], s[42:43]
	s_delay_alu instid0(VALU_DEP_2) | instskip(NEXT) | instid1(VALU_DEP_1)
	v_fma_f64 v[144:145], v[84:85], s[0:1], -v[76:77]
	v_add_f64 v[118:119], v[144:145], v[118:119]
	v_fma_f64 v[144:145], v[86:87], s[0:1], v[175:176]
	s_delay_alu instid0(VALU_DEP_1) | instskip(SKIP_1) | instid1(VALU_DEP_1)
	v_add_f64 v[142:143], v[144:145], v[142:143]
	v_fma_f64 v[144:145], v[92:93], s[12:13], -v[177:178]
	v_add_f64 v[118:119], v[144:145], v[118:119]
	v_fma_f64 v[144:145], v[94:95], s[12:13], v[187:188]
	s_delay_alu instid0(VALU_DEP_1) | instskip(SKIP_1) | instid1(VALU_DEP_1)
	v_add_f64 v[142:143], v[144:145], v[142:143]
	;; [unrolled: 5-line block ×4, first 2 shown]
	v_fma_f64 v[142:143], v[100:101], s[8:9], -v[197:198]
	v_add_f64 v[142:143], v[142:143], v[118:119]
	v_mul_f64 v[118:119], v[108:109], s[24:25]
	s_delay_alu instid0(VALU_DEP_1) | instskip(NEXT) | instid1(VALU_DEP_1)
	v_fma_f64 v[148:149], v[102:103], s[8:9], v[118:119]
	v_add_f64 v[144:145], v[148:149], v[144:145]
	v_fma_f64 v[148:149], v[84:85], s[8:9], -v[173:174]
	s_delay_alu instid0(VALU_DEP_1) | instskip(SKIP_1) | instid1(VALU_DEP_1)
	v_add_f64 v[120:121], v[148:149], v[120:121]
	v_fma_f64 v[148:149], v[86:87], s[8:9], v[199:200]
	v_add_f64 v[146:147], v[148:149], v[146:147]
	v_fma_f64 v[148:149], v[92:93], s[18:19], -v[201:202]
	s_delay_alu instid0(VALU_DEP_1) | instskip(SKIP_1) | instid1(VALU_DEP_1)
	v_add_f64 v[120:121], v[148:149], v[120:121]
	;; [unrolled: 5-line block ×5, first 2 shown]
	v_mul_f64 v[120:121], v[108:109], s[44:45]
	v_fma_f64 v[150:151], v[102:103], s[14:15], v[120:121]
	s_delay_alu instid0(VALU_DEP_1) | instskip(SKIP_1) | instid1(VALU_DEP_1)
	v_add_f64 v[148:149], v[150:151], v[148:149]
	v_fma_f64 v[150:151], v[84:85], s[16:17], -v[164:165]
	v_add_f64 v[122:123], v[150:151], v[122:123]
	v_fma_f64 v[150:151], v[86:87], s[16:17], v[215:216]
	s_delay_alu instid0(VALU_DEP_1) | instskip(SKIP_1) | instid1(VALU_DEP_1)
	v_add_f64 v[150:151], v[150:151], v[152:153]
	v_fma_f64 v[152:153], v[92:93], s[14:15], -v[217:218]
	v_add_f64 v[122:123], v[152:153], v[122:123]
	;; [unrolled: 5-line block ×5, first 2 shown]
	v_mul_f64 v[122:123], v[108:109], s[26:27]
	v_mul_f64 v[108:109], v[108:109], s[38:39]
	s_delay_alu instid0(VALU_DEP_2) | instskip(NEXT) | instid1(VALU_DEP_1)
	v_fma_f64 v[158:159], v[102:103], s[12:13], v[122:123]
	v_add_f64 v[152:153], v[158:159], v[152:153]
	v_fma_f64 v[158:159], v[84:85], s[18:19], -v[66:67]
	v_fma_f64 v[66:67], v[84:85], s[18:19], v[66:67]
	s_delay_alu instid0(VALU_DEP_2) | instskip(SKIP_2) | instid1(VALU_DEP_4)
	v_add_f64 v[154:155], v[158:159], v[154:155]
	v_fma_f64 v[158:159], v[86:87], s[18:19], v[64:65]
	v_fma_f64 v[64:65], v[86:87], s[18:19], -v[64:65]
	v_add_f64 v[52:53], v[66:67], v[52:53]
	v_fma_f64 v[66:67], v[102:103], s[16:17], -v[108:109]
	s_delay_alu instid0(VALU_DEP_4) | instskip(SKIP_3) | instid1(VALU_DEP_3)
	v_add_f64 v[156:157], v[158:159], v[156:157]
	v_fma_f64 v[158:159], v[92:93], s[8:9], -v[70:71]
	v_add_f64 v[54:55], v[64:65], v[54:55]
	v_fma_f64 v[64:65], v[92:93], s[8:9], v[70:71]
	v_add_f64 v[154:155], v[158:159], v[154:155]
	v_fma_f64 v[158:159], v[94:95], s[8:9], v[68:69]
	s_delay_alu instid0(VALU_DEP_3) | instskip(SKIP_1) | instid1(VALU_DEP_3)
	v_add_f64 v[52:53], v[64:65], v[52:53]
	v_fma_f64 v[64:65], v[94:95], s[8:9], -v[68:69]
	v_add_f64 v[156:157], v[158:159], v[156:157]
	v_fma_f64 v[158:159], v[96:97], s[14:15], -v[82:83]
	s_delay_alu instid0(VALU_DEP_3) | instskip(SKIP_1) | instid1(VALU_DEP_3)
	v_add_f64 v[54:55], v[64:65], v[54:55]
	v_fma_f64 v[64:65], v[96:97], s[14:15], v[82:83]
	v_add_f64 v[154:155], v[158:159], v[154:155]
	v_fma_f64 v[158:159], v[98:99], s[14:15], v[80:81]
	s_delay_alu instid0(VALU_DEP_3) | instskip(SKIP_2) | instid1(VALU_DEP_4)
	v_add_f64 v[52:53], v[64:65], v[52:53]
	v_fma_f64 v[64:65], v[98:99], s[14:15], -v[80:81]
	v_add_f64 v[80:81], v[46:47], v[14:15]
	v_add_f64 v[156:157], v[158:159], v[156:157]
	v_fma_f64 v[158:159], v[104:105], s[12:13], -v[90:91]
	s_delay_alu instid0(VALU_DEP_4) | instskip(SKIP_1) | instid1(VALU_DEP_3)
	v_add_f64 v[54:55], v[64:65], v[54:55]
	v_fma_f64 v[64:65], v[104:105], s[12:13], v[90:91]
	v_add_f64 v[154:155], v[158:159], v[154:155]
	v_fma_f64 v[158:159], v[106:107], s[12:13], v[88:89]
	s_delay_alu instid0(VALU_DEP_3) | instskip(SKIP_1) | instid1(VALU_DEP_3)
	v_add_f64 v[52:53], v[64:65], v[52:53]
	v_fma_f64 v[64:65], v[106:107], s[12:13], -v[88:89]
	v_add_f64 v[156:157], v[158:159], v[156:157]
	v_fma_f64 v[158:159], v[100:101], s[16:17], -v[110:111]
	s_delay_alu instid0(VALU_DEP_3) | instskip(SKIP_2) | instid1(VALU_DEP_4)
	v_add_f64 v[54:55], v[64:65], v[54:55]
	v_fma_f64 v[64:65], v[100:101], s[16:17], v[110:111]
	v_add_f64 v[110:111], v[30:31], -v[26:27]
	v_add_f64 v[154:155], v[158:159], v[154:155]
	v_fma_f64 v[158:159], v[102:103], s[16:17], v[108:109]
	v_add_f64 v[160:161], v[66:67], v[54:55]
	v_fma_f64 v[54:55], v[86:87], s[16:17], -v[215:216]
	v_fma_f64 v[66:67], v[102:103], s[12:13], -v[122:123]
	v_add_f64 v[108:109], v[34:35], -v[22:23]
	v_add_f64 v[156:157], v[158:159], v[156:157]
	v_add_f64 v[158:159], v[64:65], v[52:53]
	v_fma_f64 v[52:53], v[84:85], s[16:17], v[164:165]
	v_fma_f64 v[64:65], v[92:93], s[14:15], v[217:218]
	v_add_f64 v[54:55], v[54:55], v[162:163]
	s_delay_alu instid0(VALU_DEP_3) | instskip(SKIP_1) | instid1(VALU_DEP_2)
	v_add_f64 v[52:53], v[52:53], v[112:113]
	v_add_f64 v[112:113], v[36:37], v[0:1]
	;; [unrolled: 1-line block ×3, first 2 shown]
	v_fma_f64 v[64:65], v[94:95], s[14:15], -v[219:220]
	s_delay_alu instid0(VALU_DEP_1) | instskip(SKIP_1) | instid1(VALU_DEP_1)
	v_add_f64 v[54:55], v[64:65], v[54:55]
	v_fma_f64 v[64:65], v[96:97], s[0:1], v[221:222]
	v_add_f64 v[52:53], v[64:65], v[52:53]
	v_fma_f64 v[64:65], v[98:99], s[0:1], -v[223:224]
	s_delay_alu instid0(VALU_DEP_1) | instskip(SKIP_1) | instid1(VALU_DEP_1)
	v_add_f64 v[54:55], v[64:65], v[54:55]
	v_fma_f64 v[64:65], v[104:105], s[18:19], v[225:226]
	v_add_f64 v[52:53], v[64:65], v[52:53]
	v_fma_f64 v[64:65], v[106:107], s[18:19], -v[227:228]
	s_delay_alu instid0(VALU_DEP_1) | instskip(SKIP_1) | instid1(VALU_DEP_2)
	v_add_f64 v[54:55], v[64:65], v[54:55]
	v_fma_f64 v[64:65], v[100:101], s[12:13], v[229:230]
	v_add_f64 v[164:165], v[66:67], v[54:55]
	s_delay_alu instid0(VALU_DEP_2)
	v_add_f64 v[162:163], v[64:65], v[52:53]
	v_fma_f64 v[52:53], v[84:85], s[8:9], v[173:174]
	v_fma_f64 v[54:55], v[86:87], s[8:9], -v[199:200]
	v_fma_f64 v[64:65], v[92:93], s[18:19], v[201:202]
	v_fma_f64 v[66:67], v[102:103], s[14:15], -v[120:121]
	v_add_f64 v[120:121], v[36:37], -v[0:1]
	v_add_f64 v[52:53], v[52:53], v[74:75]
	v_add_f64 v[54:55], v[54:55], v[171:172]
	s_delay_alu instid0(VALU_DEP_3) | instskip(NEXT) | instid1(VALU_DEP_3)
	v_mul_f64 v[122:123], v[120:121], s[20:21]
	v_add_f64 v[52:53], v[64:65], v[52:53]
	v_fma_f64 v[64:65], v[94:95], s[18:19], -v[203:204]
	s_delay_alu instid0(VALU_DEP_1) | instskip(SKIP_1) | instid1(VALU_DEP_1)
	v_add_f64 v[54:55], v[64:65], v[54:55]
	v_fma_f64 v[64:65], v[96:97], s[16:17], v[205:206]
	v_add_f64 v[52:53], v[64:65], v[52:53]
	v_fma_f64 v[64:65], v[98:99], s[16:17], -v[207:208]
	s_delay_alu instid0(VALU_DEP_1) | instskip(SKIP_1) | instid1(VALU_DEP_1)
	v_add_f64 v[54:55], v[64:65], v[54:55]
	v_fma_f64 v[64:65], v[104:105], s[0:1], v[209:210]
	v_add_f64 v[52:53], v[64:65], v[52:53]
	v_fma_f64 v[64:65], v[106:107], s[0:1], -v[211:212]
	s_delay_alu instid0(VALU_DEP_1) | instskip(SKIP_1) | instid1(VALU_DEP_2)
	v_add_f64 v[54:55], v[64:65], v[54:55]
	v_fma_f64 v[64:65], v[100:101], s[14:15], v[213:214]
	v_add_f64 v[173:174], v[66:67], v[54:55]
	s_delay_alu instid0(VALU_DEP_2)
	v_add_f64 v[171:172], v[64:65], v[52:53]
	v_fma_f64 v[52:53], v[84:85], s[0:1], v[76:77]
	v_fma_f64 v[54:55], v[86:87], s[0:1], -v[175:176]
	v_fma_f64 v[64:65], v[92:93], s[12:13], v[177:178]
	v_fma_f64 v[66:67], v[102:103], s[8:9], -v[118:119]
	v_add_f64 v[118:119], v[38:39], v[2:3]
	v_add_f64 v[52:53], v[52:53], v[72:73]
	;; [unrolled: 1-line block ×4, first 2 shown]
	s_delay_alu instid0(VALU_DEP_3) | instskip(SKIP_1) | instid1(VALU_DEP_1)
	v_add_f64 v[52:53], v[64:65], v[52:53]
	v_fma_f64 v[64:65], v[94:95], s[12:13], -v[187:188]
	v_add_f64 v[54:55], v[64:65], v[54:55]
	v_fma_f64 v[64:65], v[96:97], s[18:19], v[189:190]
	s_delay_alu instid0(VALU_DEP_1) | instskip(SKIP_1) | instid1(VALU_DEP_1)
	v_add_f64 v[52:53], v[64:65], v[52:53]
	v_fma_f64 v[64:65], v[98:99], s[18:19], -v[191:192]
	v_add_f64 v[54:55], v[64:65], v[54:55]
	v_fma_f64 v[64:65], v[104:105], s[14:15], v[193:194]
	s_delay_alu instid0(VALU_DEP_1) | instskip(SKIP_1) | instid1(VALU_DEP_1)
	v_add_f64 v[52:53], v[64:65], v[52:53]
	v_fma_f64 v[64:65], v[106:107], s[14:15], -v[195:196]
	v_add_f64 v[54:55], v[64:65], v[54:55]
	v_fma_f64 v[64:65], v[100:101], s[8:9], v[197:198]
	s_delay_alu instid0(VALU_DEP_2) | instskip(NEXT) | instid1(VALU_DEP_2)
	v_add_f64 v[177:178], v[66:67], v[54:55]
	v_add_f64 v[175:176], v[64:65], v[52:53]
	v_fma_f64 v[52:53], v[84:85], s[12:13], v[56:57]
	v_fma_f64 v[54:55], v[86:87], s[12:13], -v[62:63]
	v_fma_f64 v[56:57], v[92:93], s[0:1], v[78:79]
	v_fma_f64 v[62:63], v[94:95], s[0:1], -v[114:115]
	v_fma_f64 v[64:65], v[98:99], s[8:9], -v[179:180]
	v_add_f64 v[92:93], v[40:41], -v[4:5]
	v_add_f64 v[94:95], v[48:49], -v[8:9]
	;; [unrolled: 1-line block ×3, first 2 shown]
	v_add_f64 v[52:53], v[52:53], v[58:59]
	v_add_f64 v[54:55], v[54:55], v[166:167]
	v_fma_f64 v[58:59], v[96:97], s[8:9], v[116:117]
	v_add_f64 v[116:117], v[38:39], -v[2:3]
	v_add_f64 v[96:97], v[44:45], -v[12:13]
	v_mul_f64 v[74:75], v[94:95], s[22:23]
	v_mul_f64 v[86:87], v[98:99], s[24:25]
	v_add_f64 v[52:53], v[56:57], v[52:53]
	v_add_f64 v[54:55], v[62:63], v[54:55]
	v_fma_f64 v[56:57], v[104:105], s[16:17], v[181:182]
	v_mul_f64 v[114:115], v[116:117], s[20:21]
	v_add_f64 v[104:105], v[50:51], -v[10:11]
	v_mul_f64 v[82:83], v[96:97], s[26:27]
	v_add_f64 v[52:53], v[58:59], v[52:53]
	v_add_f64 v[54:55], v[64:65], v[54:55]
	v_fma_f64 v[58:59], v[106:107], s[16:17], -v[183:184]
	v_add_f64 v[106:107], v[46:47], -v[14:15]
	s_delay_alu instid0(VALU_DEP_4) | instskip(SKIP_1) | instid1(VALU_DEP_4)
	v_add_f64 v[52:53], v[56:57], v[52:53]
	v_fma_f64 v[56:57], v[100:101], s[18:19], v[185:186]
	v_add_f64 v[54:55], v[58:59], v[54:55]
	v_fma_f64 v[58:59], v[102:103], s[18:19], -v[60:61]
	v_add_f64 v[102:103], v[42:43], -v[6:7]
	v_add_f64 v[100:101], v[28:29], -v[24:25]
	v_add_f64 v[179:180], v[56:57], v[52:53]
	v_fma_f64 v[52:53], v[112:113], s[18:19], v[114:115]
	v_add_f64 v[181:182], v[58:59], v[54:55]
	v_mul_f64 v[54:55], v[102:103], s[28:29]
	s_delay_alu instid0(VALU_DEP_3) | instskip(SKIP_1) | instid1(VALU_DEP_1)
	v_add_f64 v[56:57], v[16:17], v[52:53]
	v_add_f64 v[52:53], v[40:41], v[4:5]
	v_fma_f64 v[58:59], v[52:53], s[14:15], v[54:55]
	s_delay_alu instid0(VALU_DEP_1) | instskip(SKIP_2) | instid1(VALU_DEP_2)
	v_add_f64 v[64:65], v[58:59], v[56:57]
	v_fma_f64 v[56:57], v[118:119], s[18:19], -v[122:123]
	v_mul_f64 v[58:59], v[92:93], s[28:29]
	v_add_f64 v[60:61], v[18:19], v[56:57]
	v_add_f64 v[56:57], v[42:43], v[6:7]
	s_delay_alu instid0(VALU_DEP_1) | instskip(NEXT) | instid1(VALU_DEP_1)
	v_fma_f64 v[62:63], v[56:57], s[14:15], -v[58:59]
	v_add_f64 v[66:67], v[62:63], v[60:61]
	v_add_f64 v[60:61], v[48:49], v[8:9]
	v_mul_f64 v[62:63], v[104:105], s[22:23]
	s_delay_alu instid0(VALU_DEP_1) | instskip(NEXT) | instid1(VALU_DEP_1)
	v_fma_f64 v[68:69], v[60:61], s[16:17], v[62:63]
	v_add_f64 v[68:69], v[68:69], v[64:65]
	v_fma_f64 v[64:65], v[72:73], s[16:17], -v[74:75]
	s_delay_alu instid0(VALU_DEP_1) | instskip(SKIP_2) | instid1(VALU_DEP_1)
	v_add_f64 v[70:71], v[64:65], v[66:67]
	v_add_f64 v[64:65], v[44:45], v[12:13]
	v_mul_f64 v[66:67], v[106:107], s[26:27]
	v_fma_f64 v[76:77], v[64:65], s[12:13], v[66:67]
	s_delay_alu instid0(VALU_DEP_1) | instskip(SKIP_1) | instid1(VALU_DEP_1)
	v_add_f64 v[76:77], v[76:77], v[68:69]
	v_fma_f64 v[68:69], v[80:81], s[12:13], -v[82:83]
	v_add_f64 v[78:79], v[68:69], v[70:71]
	v_add_f64 v[68:69], v[32:33], v[20:21]
	v_mul_f64 v[70:71], v[108:109], s[24:25]
	s_delay_alu instid0(VALU_DEP_1) | instskip(NEXT) | instid1(VALU_DEP_1)
	v_fma_f64 v[84:85], v[68:69], s[8:9], v[70:71]
	v_add_f64 v[88:89], v[84:85], v[76:77]
	v_add_f64 v[84:85], v[34:35], v[22:23]
	s_delay_alu instid0(VALU_DEP_1) | instskip(NEXT) | instid1(VALU_DEP_1)
	v_fma_f64 v[76:77], v[84:85], s[8:9], -v[86:87]
	v_add_f64 v[166:167], v[76:77], v[78:79]
	v_add_f64 v[76:77], v[28:29], v[24:25]
	v_mul_f64 v[78:79], v[110:111], s[30:31]
	s_delay_alu instid0(VALU_DEP_1) | instskip(NEXT) | instid1(VALU_DEP_1)
	v_fma_f64 v[90:91], v[76:77], s[0:1], v[78:79]
	v_add_f64 v[183:184], v[90:91], v[88:89]
	v_add_f64 v[88:89], v[30:31], v[26:27]
	v_mul_f64 v[90:91], v[100:101], s[30:31]
	s_delay_alu instid0(VALU_DEP_1) | instskip(NEXT) | instid1(VALU_DEP_1)
	v_fma_f64 v[169:170], v[88:89], s[0:1], -v[90:91]
	v_add_f64 v[185:186], v[169:170], v[166:167]
	v_mul_lo_u16 v166, v231, 13
	s_delay_alu instid0(VALU_DEP_1) | instskip(NEXT) | instid1(VALU_DEP_1)
	v_and_b32_e32 v166, 0xffff, v166
	v_lshl_add_u32 v170, v166, 4, v232
	scratch_store_b128 off, v[183:186], off ; 16-byte Folded Spill
	s_waitcnt_vscnt null, 0x0
	s_barrier
	buffer_gl0_inv
	ds_store_b128 v170, v[126:129]
	ds_store_b128 v170, v[130:133] offset:16
	ds_store_b128 v170, v[138:141] offset:32
	;; [unrolled: 1-line block ×12, first 2 shown]
	v_add_co_u32 v126, s33, 0x41, v231
	s_delay_alu instid0(VALU_DEP_1) | instskip(NEXT) | instid1(VALU_DEP_2)
	v_add_co_ci_u32_e64 v127, null, 0, 0, s33
	v_mul_u32_u24_e32 v127, 13, v126
	scratch_store_b32 off, v127, off offset:932 ; 4-byte Folded Spill
	s_and_saveexec_b32 s33, vcc_lo
	s_cbranch_execz .LBB0_7
; %bb.6:
	v_add_f64 v[36:37], v[16:17], v[36:37]
	v_add_f64 v[38:39], v[18:19], v[38:39]
	v_mul_f64 v[145:146], v[88:89], s[16:17]
	v_mul_f64 v[147:148], v[110:111], s[38:39]
	;; [unrolled: 1-line block ×16, first 2 shown]
	v_add_f64 v[36:37], v[36:37], v[40:41]
	v_add_f64 v[38:39], v[38:39], v[42:43]
	v_mul_f64 v[40:41], v[118:119], s[16:17]
	s_delay_alu instid0(VALU_DEP_3) | instskip(NEXT) | instid1(VALU_DEP_3)
	v_add_f64 v[36:37], v[36:37], v[48:49]
	v_add_f64 v[38:39], v[38:39], v[50:51]
	v_mul_f64 v[48:49], v[118:119], s[18:19]
	s_delay_alu instid0(VALU_DEP_4)
	v_fma_f64 v[42:43], v[120:121], s[38:39], v[40:41]
	v_fma_f64 v[40:41], v[120:121], s[22:23], v[40:41]
	v_mul_f64 v[50:51], v[116:117], s[30:31]
	v_add_f64 v[36:37], v[36:37], v[44:45]
	v_add_f64 v[38:39], v[38:39], v[46:47]
	v_mul_f64 v[44:45], v[118:119], s[14:15]
	v_add_f64 v[48:49], v[122:123], v[48:49]
	v_mul_f64 v[122:123], v[116:117], s[22:23]
	v_fma_f64 v[127:128], v[112:113], s[0:1], v[50:51]
	v_fma_f64 v[50:51], v[112:113], s[0:1], -v[50:51]
	v_add_f64 v[139:140], v[18:19], v[42:43]
	v_add_f64 v[32:33], v[36:37], v[32:33]
	v_add_f64 v[34:35], v[38:39], v[34:35]
	v_mul_f64 v[36:37], v[118:119], s[12:13]
	v_fma_f64 v[46:47], v[120:121], s[44:45], v[44:45]
	v_fma_f64 v[44:45], v[120:121], s[28:29], v[44:45]
	v_fma_f64 v[133:134], v[112:113], s[16:17], v[122:123]
	v_fma_f64 v[122:123], v[112:113], s[16:17], -v[122:123]
	v_add_f64 v[50:51], v[16:17], v[50:51]
	v_add_f64 v[48:49], v[18:19], v[48:49]
	;; [unrolled: 1-line block ×4, first 2 shown]
	v_mul_f64 v[32:33], v[118:119], s[8:9]
	v_fma_f64 v[38:39], v[120:121], s[36:37], v[36:37]
	v_fma_f64 v[36:37], v[120:121], s[26:27], v[36:37]
	v_add_f64 v[133:134], v[16:17], v[133:134]
	v_add_f64 v[24:25], v[28:29], v[24:25]
	v_mul_f64 v[28:29], v[118:119], s[0:1]
	v_add_f64 v[26:27], v[30:31], v[26:27]
	v_fma_f64 v[34:35], v[120:121], s[34:35], v[32:33]
	v_fma_f64 v[32:33], v[120:121], s[24:25], v[32:33]
	v_mul_f64 v[118:119], v[116:117], s[24:25]
	v_add_f64 v[137:138], v[18:19], v[36:37]
	v_add_f64 v[36:37], v[18:19], v[40:41]
	;; [unrolled: 1-line block ×4, first 2 shown]
	v_fma_f64 v[30:31], v[120:121], s[40:41], v[28:29]
	v_fma_f64 v[28:29], v[120:121], s[30:31], v[28:29]
	v_mul_f64 v[120:121], v[116:117], s[26:27]
	v_mul_f64 v[116:117], v[116:117], s[28:29]
	v_fma_f64 v[129:130], v[112:113], s[8:9], v[118:119]
	v_fma_f64 v[118:119], v[112:113], s[8:9], -v[118:119]
	v_mul_f64 v[20:21], v[56:57], s[18:19]
	v_mul_f64 v[24:25], v[72:73], s[8:9]
	v_add_f64 v[34:35], v[18:19], v[34:35]
	v_add_f64 v[32:33], v[18:19], v[32:33]
	;; [unrolled: 1-line block ×4, first 2 shown]
	v_fma_f64 v[131:132], v[112:113], s[12:13], v[120:121]
	v_fma_f64 v[120:121], v[112:113], s[12:13], -v[120:121]
	v_fma_f64 v[135:136], v[112:113], s[14:15], v[116:117]
	v_fma_f64 v[116:117], v[112:113], s[14:15], -v[116:117]
	v_mul_f64 v[112:113], v[112:113], s[18:19]
	v_add_f64 v[118:119], v[16:17], v[118:119]
	v_add_f64 v[131:132], v[16:17], v[131:132]
	;; [unrolled: 1-line block ×5, first 2 shown]
	v_add_f64 v[112:113], v[112:113], -v[114:115]
	v_add_f64 v[114:115], v[16:17], v[127:128]
	v_add_f64 v[127:128], v[16:17], v[129:130]
	;; [unrolled: 1-line block ×5, first 2 shown]
	v_mul_f64 v[22:23], v[102:103], s[42:43]
	v_fma_f64 v[26:27], v[94:95], s[34:35], v[24:25]
	v_add_f64 v[122:123], v[18:19], v[46:47]
	v_fma_f64 v[24:25], v[94:95], s[24:25], v[24:25]
	v_add_f64 v[112:113], v[16:17], v[112:113]
	v_fma_f64 v[16:17], v[92:93], s[20:21], v[20:21]
	v_fma_f64 v[20:21], v[92:93], s[42:43], v[20:21]
	;; [unrolled: 1-line block ×3, first 2 shown]
	v_fma_f64 v[22:23], v[52:53], s[18:19], -v[22:23]
	s_delay_alu instid0(VALU_DEP_4) | instskip(NEXT) | instid1(VALU_DEP_4)
	v_add_f64 v[16:17], v[16:17], v[30:31]
	v_add_f64 v[20:21], v[20:21], v[28:29]
	v_mul_f64 v[28:29], v[56:57], s[16:17]
	v_add_f64 v[18:19], v[18:19], v[114:115]
	v_add_f64 v[22:23], v[22:23], v[50:51]
	;; [unrolled: 1-line block ×3, first 2 shown]
	v_mul_f64 v[26:27], v[104:105], s[24:25]
	v_add_f64 v[20:21], v[24:25], v[20:21]
	s_delay_alu instid0(VALU_DEP_2) | instskip(SKIP_2) | instid1(VALU_DEP_3)
	v_fma_f64 v[30:31], v[60:61], s[8:9], v[26:27]
	v_fma_f64 v[24:25], v[60:61], s[8:9], -v[26:27]
	v_fma_f64 v[26:27], v[76:77], s[16:17], -v[147:148]
	v_add_f64 v[18:19], v[30:31], v[18:19]
	v_mul_f64 v[30:31], v[80:81], s[14:15]
	s_delay_alu instid0(VALU_DEP_4) | instskip(NEXT) | instid1(VALU_DEP_2)
	v_add_f64 v[22:23], v[24:25], v[22:23]
	v_fma_f64 v[44:45], v[96:97], s[28:29], v[30:31]
	v_fma_f64 v[24:25], v[96:97], s[44:45], v[30:31]
	v_mul_f64 v[30:31], v[102:103], s[38:39]
	s_delay_alu instid0(VALU_DEP_3) | instskip(SKIP_1) | instid1(VALU_DEP_4)
	v_add_f64 v[16:17], v[44:45], v[16:17]
	v_mul_f64 v[44:45], v[106:107], s[44:45]
	v_add_f64 v[20:21], v[24:25], v[20:21]
	s_delay_alu instid0(VALU_DEP_2) | instskip(SKIP_1) | instid1(VALU_DEP_2)
	v_fma_f64 v[46:47], v[64:65], s[14:15], v[44:45]
	v_fma_f64 v[24:25], v[64:65], s[14:15], -v[44:45]
	v_add_f64 v[18:19], v[46:47], v[18:19]
	v_mul_f64 v[46:47], v[84:85], s[12:13]
	s_delay_alu instid0(VALU_DEP_3) | instskip(NEXT) | instid1(VALU_DEP_2)
	v_add_f64 v[22:23], v[24:25], v[22:23]
	v_fma_f64 v[114:115], v[98:99], s[36:37], v[46:47]
	v_fma_f64 v[24:25], v[98:99], s[26:27], v[46:47]
	s_delay_alu instid0(VALU_DEP_2) | instskip(SKIP_1) | instid1(VALU_DEP_3)
	v_add_f64 v[16:17], v[114:115], v[16:17]
	v_mul_f64 v[114:115], v[108:109], s[26:27]
	v_add_f64 v[20:21], v[24:25], v[20:21]
	s_delay_alu instid0(VALU_DEP_2) | instskip(SKIP_1) | instid1(VALU_DEP_2)
	v_fma_f64 v[24:25], v[68:69], s[12:13], -v[114:115]
	v_fma_f64 v[143:144], v[68:69], s[12:13], v[114:115]
	v_add_f64 v[24:25], v[24:25], v[22:23]
	v_fma_f64 v[22:23], v[100:101], s[38:39], v[145:146]
	s_delay_alu instid0(VALU_DEP_3) | instskip(SKIP_2) | instid1(VALU_DEP_4)
	v_add_f64 v[143:144], v[143:144], v[18:19]
	v_fma_f64 v[18:19], v[100:101], s[22:23], v[145:146]
	v_mul_f64 v[145:146], v[88:89], s[12:13]
	v_add_f64 v[22:23], v[22:23], v[20:21]
	v_add_f64 v[20:21], v[26:27], v[24:25]
	v_fma_f64 v[24:25], v[92:93], s[22:23], v[28:29]
	v_fma_f64 v[26:27], v[52:53], s[16:17], v[30:31]
	v_fma_f64 v[28:29], v[92:93], s[38:39], v[28:29]
	v_fma_f64 v[30:31], v[52:53], s[16:17], -v[30:31]
	v_add_f64 v[18:19], v[18:19], v[16:17]
	v_fma_f64 v[16:17], v[76:77], s[16:17], v[147:148]
	v_mul_f64 v[147:148], v[110:111], s[26:27]
	v_mul_f64 v[110:111], v[110:111], s[44:45]
	v_add_f64 v[24:25], v[24:25], v[34:35]
	v_mul_f64 v[34:35], v[72:73], s[14:15]
	v_add_f64 v[26:27], v[26:27], v[127:128]
	v_add_f64 v[28:29], v[28:29], v[32:33]
	;; [unrolled: 1-line block ×4, first 2 shown]
	v_mul_f64 v[118:119], v[72:73], s[0:1]
	v_fma_f64 v[44:45], v[94:95], s[44:45], v[34:35]
	v_fma_f64 v[32:33], v[94:95], s[28:29], v[34:35]
	v_fma_f64 v[34:35], v[76:77], s[12:13], -v[147:148]
	s_delay_alu instid0(VALU_DEP_3) | instskip(SKIP_1) | instid1(VALU_DEP_4)
	v_add_f64 v[24:25], v[44:45], v[24:25]
	v_mul_f64 v[44:45], v[104:105], s[28:29]
	v_add_f64 v[28:29], v[32:33], v[28:29]
	s_delay_alu instid0(VALU_DEP_2) | instskip(SKIP_2) | instid1(VALU_DEP_3)
	v_fma_f64 v[46:47], v[60:61], s[14:15], v[44:45]
	v_fma_f64 v[32:33], v[60:61], s[14:15], -v[44:45]
	v_mul_f64 v[44:45], v[56:57], s[8:9]
	v_add_f64 v[26:27], v[46:47], v[26:27]
	v_mul_f64 v[46:47], v[80:81], s[0:1]
	s_delay_alu instid0(VALU_DEP_4) | instskip(NEXT) | instid1(VALU_DEP_2)
	v_add_f64 v[30:31], v[32:33], v[30:31]
	v_fma_f64 v[50:51], v[96:97], s[30:31], v[46:47]
	v_fma_f64 v[32:33], v[96:97], s[40:41], v[46:47]
	v_mul_f64 v[46:47], v[102:103], s[34:35]
	s_delay_alu instid0(VALU_DEP_3) | instskip(SKIP_1) | instid1(VALU_DEP_4)
	v_add_f64 v[24:25], v[50:51], v[24:25]
	v_mul_f64 v[50:51], v[106:107], s[40:41]
	v_add_f64 v[28:29], v[32:33], v[28:29]
	s_delay_alu instid0(VALU_DEP_2) | instskip(SKIP_2) | instid1(VALU_DEP_3)
	v_fma_f64 v[114:115], v[64:65], s[0:1], v[50:51]
	v_fma_f64 v[32:33], v[64:65], s[0:1], -v[50:51]
	v_mul_f64 v[50:51], v[56:57], s[12:13]
	v_add_f64 v[26:27], v[114:115], v[26:27]
	v_mul_f64 v[114:115], v[84:85], s[18:19]
	s_delay_alu instid0(VALU_DEP_4) | instskip(NEXT) | instid1(VALU_DEP_2)
	v_add_f64 v[30:31], v[32:33], v[30:31]
	v_fma_f64 v[127:128], v[98:99], s[20:21], v[114:115]
	v_fma_f64 v[32:33], v[98:99], s[42:43], v[114:115]
	v_mul_f64 v[114:115], v[102:103], s[26:27]
	v_mul_f64 v[102:103], v[72:73], s[18:19]
	s_delay_alu instid0(VALU_DEP_4) | instskip(SKIP_3) | instid1(VALU_DEP_3)
	v_add_f64 v[24:25], v[127:128], v[24:25]
	v_mul_f64 v[127:128], v[108:109], s[42:43]
	v_add_f64 v[28:29], v[32:33], v[28:29]
	v_mul_f64 v[108:109], v[108:109], s[40:41]
	v_fma_f64 v[32:33], v[68:69], s[18:19], -v[127:128]
	v_fma_f64 v[143:144], v[68:69], s[18:19], v[127:128]
	v_mul_f64 v[127:128], v[104:105], s[30:31]
	v_mul_f64 v[104:105], v[104:105], s[42:43]
	s_delay_alu instid0(VALU_DEP_4)
	v_add_f64 v[32:33], v[32:33], v[30:31]
	v_fma_f64 v[30:31], v[100:101], s[26:27], v[145:146]
	v_add_f64 v[143:144], v[143:144], v[26:27]
	v_fma_f64 v[26:27], v[100:101], s[36:37], v[145:146]
	v_mul_f64 v[145:146], v[106:107], s[34:35]
	v_mul_f64 v[106:107], v[106:107], s[22:23]
	v_add_f64 v[30:31], v[30:31], v[28:29]
	v_add_f64 v[28:29], v[34:35], v[32:33]
	v_fma_f64 v[32:33], v[92:93], s[26:27], v[50:51]
	v_add_f64 v[26:27], v[26:27], v[24:25]
	v_fma_f64 v[24:25], v[76:77], s[12:13], v[147:148]
	v_fma_f64 v[34:35], v[52:53], s[12:13], -v[114:115]
	v_mul_f64 v[147:148], v[84:85], s[16:17]
	v_add_f64 v[32:33], v[32:33], v[40:41]
	v_fma_f64 v[40:41], v[94:95], s[30:31], v[118:119]
	v_add_f64 v[24:25], v[24:25], v[143:144]
	v_add_f64 v[34:35], v[34:35], v[42:43]
	v_mul_f64 v[143:144], v[80:81], s[8:9]
	v_fma_f64 v[42:43], v[52:53], s[8:9], -v[46:47]
	v_fma_f64 v[46:47], v[52:53], s[8:9], v[46:47]
	v_add_f64 v[32:33], v[40:41], v[32:33]
	v_fma_f64 v[40:41], v[60:61], s[0:1], -v[127:128]
	s_delay_alu instid0(VALU_DEP_4)
	v_add_f64 v[42:43], v[42:43], v[120:121]
	v_fma_f64 v[120:121], v[94:95], s[42:43], v[102:103]
	v_fma_f64 v[102:103], v[94:95], s[20:21], v[102:103]
	v_add_f64 v[46:47], v[46:47], v[131:132]
	v_add_f64 v[34:35], v[40:41], v[34:35]
	v_fma_f64 v[40:41], v[96:97], s[34:35], v[143:144]
	s_delay_alu instid0(VALU_DEP_1) | instskip(SKIP_1) | instid1(VALU_DEP_1)
	v_add_f64 v[32:33], v[40:41], v[32:33]
	v_fma_f64 v[40:41], v[64:65], s[8:9], -v[145:146]
	v_add_f64 v[34:35], v[40:41], v[34:35]
	v_fma_f64 v[40:41], v[98:99], s[38:39], v[147:148]
	s_delay_alu instid0(VALU_DEP_1) | instskip(SKIP_1) | instid1(VALU_DEP_1)
	v_add_f64 v[32:33], v[40:41], v[32:33]
	v_fma_f64 v[40:41], v[68:69], s[16:17], -v[149:150]
	;; [unrolled: 5-line block ×8, first 2 shown]
	v_add_f64 v[36:37], v[36:37], v[40:41]
	v_fma_f64 v[40:41], v[92:93], s[34:35], v[44:45]
	v_fma_f64 v[44:45], v[92:93], s[24:25], v[44:45]
	s_delay_alu instid0(VALU_DEP_2) | instskip(NEXT) | instid1(VALU_DEP_2)
	v_add_f64 v[40:41], v[40:41], v[137:138]
	v_add_f64 v[44:45], v[44:45], v[129:130]
	s_delay_alu instid0(VALU_DEP_2) | instskip(SKIP_1) | instid1(VALU_DEP_3)
	v_add_f64 v[40:41], v[120:121], v[40:41]
	v_fma_f64 v[120:121], v[60:61], s[18:19], -v[104:105]
	v_add_f64 v[44:45], v[102:103], v[44:45]
	v_fma_f64 v[102:103], v[60:61], s[18:19], v[104:105]
	v_fma_f64 v[104:105], v[76:77], s[14:15], v[110:111]
	s_delay_alu instid0(VALU_DEP_4) | instskip(SKIP_1) | instid1(VALU_DEP_4)
	v_add_f64 v[42:43], v[120:121], v[42:43]
	v_mul_f64 v[120:121], v[80:81], s[16:17]
	v_add_f64 v[46:47], v[102:103], v[46:47]
	s_delay_alu instid0(VALU_DEP_2) | instskip(SKIP_1) | instid1(VALU_DEP_2)
	v_fma_f64 v[137:138], v[96:97], s[22:23], v[120:121]
	v_fma_f64 v[102:103], v[96:97], s[38:39], v[120:121]
	v_add_f64 v[40:41], v[137:138], v[40:41]
	v_fma_f64 v[137:138], v[64:65], s[16:17], -v[106:107]
	s_delay_alu instid0(VALU_DEP_3) | instskip(SKIP_2) | instid1(VALU_DEP_4)
	v_add_f64 v[44:45], v[102:103], v[44:45]
	v_fma_f64 v[102:103], v[64:65], s[16:17], v[106:107]
	v_fma_f64 v[106:107], v[94:95], s[26:27], v[159:160]
	v_add_f64 v[42:43], v[137:138], v[42:43]
	v_mul_f64 v[137:138], v[84:85], s[0:1]
	s_delay_alu instid0(VALU_DEP_4) | instskip(NEXT) | instid1(VALU_DEP_2)
	v_add_f64 v[46:47], v[102:103], v[46:47]
	v_fma_f64 v[102:103], v[98:99], s[30:31], v[137:138]
	v_fma_f64 v[179:180], v[98:99], s[40:41], v[137:138]
	s_delay_alu instid0(VALU_DEP_2) | instskip(SKIP_1) | instid1(VALU_DEP_3)
	v_add_f64 v[44:45], v[102:103], v[44:45]
	v_fma_f64 v[102:103], v[68:69], s[0:1], v[108:109]
	v_add_f64 v[40:41], v[179:180], v[40:41]
	v_fma_f64 v[179:180], v[68:69], s[0:1], -v[108:109]
	v_fma_f64 v[108:109], v[76:77], s[8:9], v[177:178]
	s_delay_alu instid0(VALU_DEP_4) | instskip(SKIP_1) | instid1(VALU_DEP_4)
	v_add_f64 v[102:103], v[102:103], v[46:47]
	v_fma_f64 v[46:47], v[100:101], s[28:29], v[181:182]
	v_add_f64 v[179:180], v[179:180], v[42:43]
	v_fma_f64 v[42:43], v[100:101], s[44:45], v[181:182]
	s_delay_alu instid0(VALU_DEP_3)
	v_add_f64 v[46:47], v[46:47], v[44:45]
	v_add_f64 v[44:45], v[104:105], v[102:103]
	;; [unrolled: 1-line block ×3, first 2 shown]
	v_fma_f64 v[12:13], v[92:93], s[40:41], v[155:156]
	v_add_f64 v[102:103], v[116:117], v[14:15]
	v_fma_f64 v[14:15], v[52:53], s[0:1], v[157:158]
	v_add_f64 v[42:43], v[42:43], v[40:41]
	v_fma_f64 v[40:41], v[76:77], s[14:15], -v[110:111]
	v_add_f64 v[104:105], v[104:105], v[8:9]
	v_add_f64 v[12:13], v[12:13], v[139:140]
	v_fma_f64 v[8:9], v[92:93], s[36:37], v[50:51]
	v_add_f64 v[14:15], v[14:15], v[133:134]
	v_add_f64 v[102:103], v[102:103], v[10:11]
	v_fma_f64 v[10:11], v[94:95], s[40:41], v[118:119]
	v_fma_f64 v[50:51], v[96:97], s[24:25], v[143:144]
	;; [unrolled: 1-line block ×4, first 2 shown]
	v_add_f64 v[40:41], v[40:41], v[179:180]
	v_add_f64 v[12:13], v[106:107], v[12:13]
	v_fma_f64 v[106:107], v[60:61], s[12:13], v[161:162]
	v_add_f64 v[8:9], v[8:9], v[122:123]
	s_delay_alu instid0(VALU_DEP_2) | instskip(SKIP_2) | instid1(VALU_DEP_4)
	v_add_f64 v[14:15], v[106:107], v[14:15]
	v_fma_f64 v[106:107], v[96:97], s[20:21], v[163:164]
	v_fma_f64 v[96:97], v[52:53], s[12:13], v[114:115]
	v_add_f64 v[8:9], v[10:11], v[8:9]
	v_fma_f64 v[10:11], v[60:61], s[0:1], v[127:128]
	v_mul_f64 v[52:53], v[52:53], s[14:15]
	v_add_f64 v[12:13], v[106:107], v[12:13]
	v_add_f64 v[96:97], v[96:97], v[135:136]
	;; [unrolled: 1-line block ×3, first 2 shown]
	v_fma_f64 v[50:51], v[64:65], s[8:9], v[145:146]
	v_add_f64 v[52:53], v[52:53], -v[54:55]
	v_fma_f64 v[106:107], v[64:65], s[18:19], v[165:166]
	v_mul_f64 v[54:55], v[80:81], s[12:13]
	v_add_f64 v[10:11], v[10:11], v[96:97]
	v_add_f64 v[8:9], v[92:93], v[8:9]
	v_fma_f64 v[92:93], v[76:77], s[18:19], v[153:154]
	v_add_f64 v[14:15], v[106:107], v[14:15]
	v_fma_f64 v[106:107], v[98:99], s[44:45], v[171:172]
	v_add_f64 v[54:55], v[82:83], v[54:55]
	v_add_f64 v[10:11], v[50:51], v[10:11]
	v_fma_f64 v[50:51], v[68:69], s[16:17], v[149:150]
	s_delay_alu instid0(VALU_DEP_4) | instskip(SKIP_1) | instid1(VALU_DEP_3)
	v_add_f64 v[12:13], v[106:107], v[12:13]
	v_fma_f64 v[106:107], v[68:69], s[14:15], v[173:174]
	v_add_f64 v[50:51], v[50:51], v[10:11]
	v_add_f64 v[10:11], v[94:95], v[8:9]
	s_delay_alu instid0(VALU_DEP_3) | instskip(SKIP_1) | instid1(VALU_DEP_4)
	v_add_f64 v[106:107], v[106:107], v[14:15]
	v_fma_f64 v[14:15], v[100:101], s[34:35], v[175:176]
	v_add_f64 v[8:9], v[92:93], v[50:51]
	v_add_f64 v[50:51], v[102:103], v[6:7]
	v_mul_f64 v[6:7], v[56:57], s[14:15]
	v_add_f64 v[92:93], v[104:105], v[4:5]
	v_mul_f64 v[4:5], v[72:73], s[16:17]
	v_mul_f64 v[56:57], v[60:61], s[16:17]
	;; [unrolled: 1-line block ×3, first 2 shown]
	v_add_f64 v[14:15], v[14:15], v[12:13]
	v_add_f64 v[12:13], v[108:109], v[106:107]
	;; [unrolled: 1-line block ×4, first 2 shown]
	v_mul_f64 v[58:59], v[64:65], s[12:13]
	v_add_f64 v[4:5], v[74:75], v[4:5]
	v_add_f64 v[56:57], v[56:57], -v[62:63]
	v_add_f64 v[60:61], v[86:87], v[60:61]
	v_add_f64 v[0:1], v[92:93], v[0:1]
	;; [unrolled: 1-line block ×4, first 2 shown]
	v_add_f64 v[58:59], v[58:59], -v[66:67]
	v_mul_f64 v[52:53], v[68:69], s[8:9]
	s_delay_alu instid0(VALU_DEP_4) | instskip(NEXT) | instid1(VALU_DEP_4)
	v_add_f64 v[4:5], v[4:5], v[6:7]
	v_add_f64 v[6:7], v[56:57], v[48:49]
	v_mul_f64 v[48:49], v[88:89], s[0:1]
	s_delay_alu instid0(VALU_DEP_4) | instskip(NEXT) | instid1(VALU_DEP_4)
	v_add_f64 v[52:53], v[52:53], -v[70:71]
	v_add_f64 v[4:5], v[54:55], v[4:5]
	s_delay_alu instid0(VALU_DEP_4) | instskip(SKIP_2) | instid1(VALU_DEP_4)
	v_add_f64 v[6:7], v[58:59], v[6:7]
	v_mul_f64 v[54:55], v[76:77], s[0:1]
	v_add_f64 v[48:49], v[90:91], v[48:49]
	v_add_f64 v[4:5], v[60:61], v[4:5]
	s_delay_alu instid0(VALU_DEP_4) | instskip(NEXT) | instid1(VALU_DEP_4)
	v_add_f64 v[52:53], v[52:53], v[6:7]
	v_add_f64 v[54:55], v[54:55], -v[78:79]
	s_delay_alu instid0(VALU_DEP_3) | instskip(SKIP_1) | instid1(VALU_DEP_3)
	v_add_f64 v[6:7], v[48:49], v[4:5]
	v_mul_u32_u24_e32 v48, 13, v126
	v_add_f64 v[4:5], v[54:55], v[52:53]
	s_delay_alu instid0(VALU_DEP_2)
	v_lshl_add_u32 v48, v48, 4, v232
	ds_store_b128 v48, v[32:35] offset:32
	ds_store_b128 v48, v[36:39] offset:48
	ds_store_b128 v48, v[40:43] offset:64
	ds_store_b128 v48, v[28:31] offset:80
	ds_store_b128 v48, v[20:23] offset:96
	ds_store_b128 v48, v[16:19] offset:112
	ds_store_b128 v48, v[24:27] offset:128
	ds_store_b128 v48, v[44:47] offset:144
	ds_store_b128 v48, v[12:15] offset:160
	ds_store_b128 v48, v[8:11] offset:176
	ds_store_b128 v48, v[4:7] offset:16
	ds_store_b128 v48, v[0:3]
	scratch_load_b128 v[0:3], off, off      ; 16-byte Folded Reload
	s_waitcnt vmcnt(0)
	ds_store_b128 v48, v[0:3] offset:192
.LBB0_7:
	s_or_b32 exec_lo, exec_lo, s33
	v_dual_mov_b32 v163, v232 :: v_dual_and_b32 v0, 0xff, v231
	v_dual_mov_b32 v162, v231 :: v_dual_and_b32 v1, 0xff, v126
	s_waitcnt lgkmcnt(0)
	s_waitcnt_vscnt null, 0x0
	s_delay_alu instid0(VALU_DEP_2)
	v_mul_lo_u16 v0, 0x4f, v0
	s_barrier
	buffer_gl0_inv
	v_add_co_u32 v116, null, 0x82, v231
	v_lshrrev_b16 v87, 10, v0
	v_add_co_u32 v118, null, 0xc3, v231
	s_delay_alu instid0(VALU_DEP_3) | instskip(SKIP_1) | instid1(VALU_DEP_4)
	v_and_b32_e32 v86, 0xff, v116
	v_add_co_u32 v117, null, 0x104, v231
	v_mul_lo_u16 v0, v87, 13
	s_delay_alu instid0(VALU_DEP_4) | instskip(SKIP_1) | instid1(VALU_DEP_3)
	v_and_b32_e32 v88, 0xffff, v118
	s_mov_b32 s8, 0x134454ff
	v_and_b32_e32 v96, 0xffff, v117
	s_mov_b32 s9, 0x3fee6f0e
	v_sub_nc_u16 v0, v231, v0
	s_mov_b32 s13, 0xbfee6f0e
	s_mov_b32 s12, s8
	s_mov_b32 s14, 0x4755a5e
	s_mov_b32 s15, 0x3fe2cf23
	v_and_b32_e32 v89, 0xff, v0
	v_mul_lo_u16 v0, 0x4f, v1
	s_mov_b32 s17, 0xbfe2cf23
	s_mov_b32 s16, s14
	;; [unrolled: 1-line block ×3, first 2 shown]
	v_lshlrev_b32_e32 v1, 6, v89
	v_lshrrev_b16 v84, 10, v0
	s_mov_b32 s19, 0x3fd3c6ef
	v_lshl_add_u32 v171, v162, 4, v163
	global_load_b128 v[28:31], v1, s[2:3]
	v_mul_lo_u16 v0, v84, 13
	s_delay_alu instid0(VALU_DEP_1) | instskip(NEXT) | instid1(VALU_DEP_1)
	v_sub_nc_u16 v0, v126, v0
	v_and_b32_e32 v85, 0xff, v0
	s_delay_alu instid0(VALU_DEP_1)
	v_lshlrev_b32_e32 v32, 6, v85
	s_clause 0x4
	global_load_b128 v[33:36], v32, s[2:3]
	global_load_b128 v[41:44], v1, s[2:3] offset:16
	global_load_b128 v[37:40], v1, s[2:3] offset:32
	;; [unrolled: 1-line block ×4, first 2 shown]
	ds_load_b128 v[0:3], v168 offset:5200
	ds_load_b128 v[8:11], v168 offset:6240
	;; [unrolled: 1-line block ×4, first 2 shown]
	s_waitcnt vmcnt(5) lgkmcnt(3)
	v_mul_f64 v[4:5], v[2:3], v[30:31]
	v_mul_f64 v[12:13], v[0:1], v[30:31]
	scratch_store_b128 off, v[28:31], off offset:292 ; 16-byte Folded Spill
	s_waitcnt vmcnt(4)
	scratch_store_b128 off, v[33:36], off offset:276 ; 16-byte Folded Spill
	s_waitcnt lgkmcnt(2)
	v_mul_f64 v[22:23], v[10:11], v[35:36]
	v_mul_f64 v[24:25], v[8:9], v[35:36]
	s_waitcnt vmcnt(3) lgkmcnt(1)
	v_mul_f64 v[26:27], v[16:17], v[43:44]
	s_waitcnt vmcnt(1)
	scratch_store_b128 off, v[49:52], off offset:356 ; 16-byte Folded Spill
	s_waitcnt vmcnt(0)
	s_clause 0x2
	scratch_store_b128 off, v[45:48], off offset:340
	scratch_store_b128 off, v[41:44], off offset:324
	;; [unrolled: 1-line block ×3, first 2 shown]
	v_fma_f64 v[6:7], v[0:1], v[28:29], -v[4:5]
	v_fma_f64 v[4:5], v[2:3], v[28:29], v[12:13]
	v_mul_f64 v[12:13], v[14:15], v[43:44]
	v_fma_f64 v[0:1], v[8:9], v[33:34], -v[22:23]
	v_fma_f64 v[2:3], v[10:11], v[33:34], v[24:25]
	global_load_b128 v[33:36], v32, s[2:3] offset:32
	ds_load_b128 v[22:25], v168 offset:20800
	s_waitcnt lgkmcnt(1)
	v_mul_f64 v[28:29], v[20:21], v[39:40]
	v_mul_f64 v[8:9], v[18:19], v[39:40]
	v_fma_f64 v[14:15], v[14:15], v[41:42], -v[26:27]
	v_fma_f64 v[10:11], v[16:17], v[41:42], v[12:13]
	s_waitcnt lgkmcnt(0)
	v_mul_f64 v[16:17], v[24:25], v[51:52]
	v_fma_f64 v[12:13], v[18:19], v[37:38], -v[28:29]
	v_mul_f64 v[18:19], v[22:23], v[51:52]
	v_fma_f64 v[8:9], v[20:21], v[37:38], v[8:9]
	v_add_f64 v[121:122], v[14:15], -v[6:7]
	v_fma_f64 v[30:31], v[22:23], v[49:50], -v[16:17]
	v_add_f64 v[101:102], v[14:15], v[12:13]
	v_fma_f64 v[28:29], v[24:25], v[49:50], v[18:19]
	ds_load_b128 v[18:21], v168 offset:11440
	v_add_f64 v[111:112], v[10:11], -v[8:9]
	v_add_f64 v[119:120], v[14:15], -v[12:13]
	;; [unrolled: 1-line block ×4, first 2 shown]
	s_waitcnt lgkmcnt(0)
	v_mul_f64 v[16:17], v[20:21], v[47:48]
	v_add_f64 v[109:110], v[4:5], -v[28:29]
	s_delay_alu instid0(VALU_DEP_2) | instskip(SKIP_1) | instid1(VALU_DEP_1)
	v_fma_f64 v[16:17], v[18:19], v[45:46], -v[16:17]
	v_mul_f64 v[18:19], v[18:19], v[47:48]
	v_fma_f64 v[18:19], v[20:21], v[45:46], v[18:19]
	ds_load_b128 v[20:23], v168 offset:16640
	v_add_f64 v[129:130], v[18:19], -v[2:3]
	s_waitcnt vmcnt(0) lgkmcnt(0)
	v_mul_f64 v[24:25], v[22:23], v[35:36]
	scratch_store_b128 off, v[33:36], off offset:372 ; 16-byte Folded Spill
	v_fma_f64 v[54:55], v[20:21], v[33:34], -v[24:25]
	v_mul_f64 v[20:21], v[20:21], v[35:36]
	s_delay_alu instid0(VALU_DEP_2) | instskip(NEXT) | instid1(VALU_DEP_2)
	v_add_f64 v[127:128], v[16:17], -v[54:55]
	v_fma_f64 v[52:53], v[22:23], v[33:34], v[20:21]
	global_load_b128 v[32:35], v32, s[2:3] offset:48
	ds_load_b128 v[20:23], v168 offset:21840
	s_waitcnt vmcnt(0) lgkmcnt(0)
	v_mul_f64 v[24:25], v[22:23], v[34:35]
	scratch_store_b128 off, v[32:35], off offset:388 ; 16-byte Folded Spill
	v_fma_f64 v[56:57], v[20:21], v[32:33], -v[24:25]
	v_mul_f64 v[20:21], v[20:21], v[34:35]
	ds_load_b128 v[24:27], v168 offset:7280
	v_fma_f64 v[58:59], v[22:23], v[32:33], v[20:21]
	v_mul_lo_u16 v20, 0x4f, v86
	s_delay_alu instid0(VALU_DEP_1) | instskip(NEXT) | instid1(VALU_DEP_1)
	v_lshrrev_b16 v90, 10, v20
	v_mul_lo_u16 v20, v90, 13
	s_delay_alu instid0(VALU_DEP_1) | instskip(NEXT) | instid1(VALU_DEP_1)
	v_sub_nc_u16 v20, v116, v20
	v_and_b32_e32 v91, 0xff, v20
	s_delay_alu instid0(VALU_DEP_1)
	v_lshlrev_b32_e32 v38, 6, v91
	s_clause 0x1
	global_load_b128 v[32:35], v38, s[2:3]
	global_load_b128 v[39:42], v38, s[2:3] offset:16
	s_waitcnt vmcnt(1) lgkmcnt(0)
	v_mul_f64 v[20:21], v[26:27], v[34:35]
	scratch_store_b128 off, v[32:35], off offset:420 ; 16-byte Folded Spill
	s_waitcnt vmcnt(0)
	scratch_store_b128 off, v[39:42], off offset:404 ; 16-byte Folded Spill
	v_fma_f64 v[22:23], v[24:25], v[32:33], -v[20:21]
	v_mul_f64 v[20:21], v[24:25], v[34:35]
	s_delay_alu instid0(VALU_DEP_1) | instskip(SKIP_4) | instid1(VALU_DEP_2)
	v_fma_f64 v[20:21], v[26:27], v[32:33], v[20:21]
	ds_load_b128 v[32:35], v168 offset:12480
	s_waitcnt lgkmcnt(0)
	v_mul_f64 v[24:25], v[34:35], v[41:42]
	v_mul_f64 v[26:27], v[32:33], v[41:42]
	v_fma_f64 v[24:25], v[32:33], v[39:40], -v[24:25]
	s_delay_alu instid0(VALU_DEP_2)
	v_fma_f64 v[26:27], v[34:35], v[39:40], v[26:27]
	global_load_b128 v[39:42], v38, s[2:3] offset:32
	ds_load_b128 v[32:35], v168 offset:17680
	v_add_f64 v[137:138], v[24:25], -v[22:23]
	s_waitcnt vmcnt(0) lgkmcnt(0)
	v_mul_f64 v[36:37], v[34:35], v[41:42]
	scratch_store_b128 off, v[39:42], off offset:436 ; 16-byte Folded Spill
	v_fma_f64 v[68:69], v[32:33], v[39:40], -v[36:37]
	v_mul_f64 v[32:33], v[32:33], v[41:42]
	s_delay_alu instid0(VALU_DEP_2) | instskip(NEXT) | instid1(VALU_DEP_2)
	v_add_f64 v[135:136], v[24:25], -v[68:69]
	v_fma_f64 v[70:71], v[34:35], v[39:40], v[32:33]
	global_load_b128 v[38:41], v38, s[2:3] offset:48
	ds_load_b128 v[32:35], v168 offset:22880
	v_add_f64 v[131:132], v[26:27], -v[70:71]
	s_waitcnt vmcnt(0) lgkmcnt(0)
	v_mul_f64 v[36:37], v[34:35], v[40:41]
	scratch_store_b128 off, v[38:41], off offset:452 ; 16-byte Folded Spill
	v_fma_f64 v[74:75], v[32:33], v[38:39], -v[36:37]
	v_mul_f64 v[32:33], v[32:33], v[40:41]
	s_delay_alu instid0(VALU_DEP_2) | instskip(NEXT) | instid1(VALU_DEP_2)
	v_add_f64 v[133:134], v[22:23], -v[74:75]
	v_fma_f64 v[76:77], v[34:35], v[38:39], v[32:33]
	v_mul_u32_u24_e32 v32, 0x4ec5, v88
	s_delay_alu instid0(VALU_DEP_1) | instskip(NEXT) | instid1(VALU_DEP_1)
	v_lshrrev_b32_e32 v92, 18, v32
	v_mul_lo_u16 v32, v92, 13
	s_delay_alu instid0(VALU_DEP_1) | instskip(NEXT) | instid1(VALU_DEP_1)
	v_sub_nc_u16 v93, v118, v32
	v_lshlrev_b16 v32, 2, v93
	s_delay_alu instid0(VALU_DEP_1) | instskip(NEXT) | instid1(VALU_DEP_1)
	v_and_b32_e32 v32, 0xffff, v32
	v_lshlrev_b32_e32 v48, 4, v32
	ds_load_b128 v[32:35], v168 offset:8320
	s_clause 0x1
	global_load_b128 v[40:43], v48, s[2:3]
	global_load_b128 v[60:63], v48, s[2:3] offset:32
	s_waitcnt vmcnt(1) lgkmcnt(0)
	v_mul_f64 v[36:37], v[34:35], v[42:43]
	scratch_store_b128 off, v[40:43], off offset:484 ; 16-byte Folded Spill
	s_waitcnt vmcnt(0)
	scratch_store_b128 off, v[60:63], off offset:500 ; 16-byte Folded Spill
	v_fma_f64 v[38:39], v[32:33], v[40:41], -v[36:37]
	v_mul_f64 v[32:33], v[32:33], v[42:43]
	global_load_b128 v[42:45], v48, s[2:3] offset:16
	v_fma_f64 v[36:37], v[34:35], v[40:41], v[32:33]
	ds_load_b128 v[32:35], v168 offset:13520
	s_waitcnt vmcnt(0) lgkmcnt(0)
	v_mul_f64 v[40:41], v[34:35], v[44:45]
	scratch_store_b128 off, v[42:45], off offset:516 ; 16-byte Folded Spill
	v_fma_f64 v[40:41], v[32:33], v[42:43], -v[40:41]
	v_mul_f64 v[32:33], v[32:33], v[44:45]
	s_delay_alu instid0(VALU_DEP_1) | instskip(SKIP_3) | instid1(VALU_DEP_1)
	v_fma_f64 v[42:43], v[34:35], v[42:43], v[32:33]
	ds_load_b128 v[32:35], v168 offset:18720
	s_waitcnt lgkmcnt(0)
	v_mul_f64 v[44:45], v[34:35], v[62:63]
	v_fma_f64 v[44:45], v[32:33], v[60:61], -v[44:45]
	v_mul_f64 v[32:33], v[32:33], v[62:63]
	s_delay_alu instid0(VALU_DEP_1) | instskip(SKIP_4) | instid1(VALU_DEP_1)
	v_fma_f64 v[46:47], v[34:35], v[60:61], v[32:33]
	global_load_b128 v[60:63], v48, s[2:3] offset:48
	ds_load_b128 v[32:35], v168 offset:23920
	s_waitcnt vmcnt(0) lgkmcnt(0)
	v_mul_f64 v[48:49], v[34:35], v[62:63]
	v_fma_f64 v[48:49], v[32:33], v[60:61], -v[48:49]
	v_mul_f64 v[32:33], v[32:33], v[62:63]
	s_delay_alu instid0(VALU_DEP_1) | instskip(SKIP_1) | instid1(VALU_DEP_1)
	v_fma_f64 v[50:51], v[34:35], v[60:61], v[32:33]
	v_mul_u32_u24_e32 v32, 0x4ec5, v96
	v_lshrrev_b32_e32 v94, 18, v32
	s_delay_alu instid0(VALU_DEP_1) | instskip(NEXT) | instid1(VALU_DEP_1)
	v_mul_lo_u16 v32, v94, 13
	v_sub_nc_u16 v95, v117, v32
	s_delay_alu instid0(VALU_DEP_1) | instskip(NEXT) | instid1(VALU_DEP_1)
	v_lshlrev_b16 v32, 2, v95
	v_and_b32_e32 v32, 0xffff, v32
	s_delay_alu instid0(VALU_DEP_1)
	v_lshlrev_b32_e32 v72, 4, v32
	s_clause 0x2
	global_load_b128 v[64:67], v72, s[2:3]
	global_load_b128 v[78:81], v72, s[2:3] offset:16
	global_load_b128 v[97:100], v72, s[2:3] offset:32
	scratch_store_b128 off, v[60:63], off offset:532 ; 16-byte Folded Spill
	ds_load_b128 v[60:63], v168 offset:9360
	s_waitcnt vmcnt(2)
	scratch_store_b128 off, v[64:67], off offset:548 ; 16-byte Folded Spill
	s_waitcnt lgkmcnt(0)
	v_mul_f64 v[32:33], v[62:63], v[66:67]
	s_waitcnt vmcnt(1)
	scratch_store_b128 off, v[78:81], off offset:564 ; 16-byte Folded Spill
	s_waitcnt vmcnt(0)
	scratch_store_b128 off, v[97:100], off offset:660 ; 16-byte Folded Spill
	v_fma_f64 v[34:35], v[60:61], v[64:65], -v[32:33]
	v_mul_f64 v[32:33], v[60:61], v[66:67]
	s_delay_alu instid0(VALU_DEP_1) | instskip(SKIP_3) | instid1(VALU_DEP_1)
	v_fma_f64 v[32:33], v[62:63], v[64:65], v[32:33]
	ds_load_b128 v[62:65], v168 offset:14560
	s_waitcnt lgkmcnt(0)
	v_mul_f64 v[60:61], v[64:65], v[80:81]
	v_fma_f64 v[60:61], v[62:63], v[78:79], -v[60:61]
	v_mul_f64 v[62:63], v[62:63], v[80:81]
	s_delay_alu instid0(VALU_DEP_1) | instskip(SKIP_3) | instid1(VALU_DEP_1)
	v_fma_f64 v[62:63], v[64:65], v[78:79], v[62:63]
	ds_load_b128 v[78:81], v168 offset:19760
	s_waitcnt lgkmcnt(0)
	v_mul_f64 v[64:65], v[80:81], v[99:100]
	v_fma_f64 v[66:67], v[78:79], v[97:98], -v[64:65]
	v_mul_f64 v[64:65], v[78:79], v[99:100]
	s_delay_alu instid0(VALU_DEP_1)
	v_fma_f64 v[64:65], v[80:81], v[97:98], v[64:65]
	global_load_b128 v[97:100], v72, s[2:3] offset:48
	ds_load_b128 v[78:81], v168 offset:24960
	s_waitcnt vmcnt(0) lgkmcnt(0)
	v_mul_f64 v[72:73], v[80:81], v[99:100]
	scratch_store_b128 off, v[97:100], off offset:676 ; 16-byte Folded Spill
	v_fma_f64 v[72:73], v[78:79], v[97:98], -v[72:73]
	v_mul_f64 v[78:79], v[78:79], v[99:100]
	s_delay_alu instid0(VALU_DEP_1) | instskip(SKIP_2) | instid1(VALU_DEP_2)
	v_fma_f64 v[78:79], v[80:81], v[97:98], v[78:79]
	v_add_f64 v[80:81], v[6:7], -v[14:15]
	v_add_f64 v[97:98], v[28:29], -v[8:9]
	v_add_f64 v[80:81], v[80:81], v[82:83]
	v_add_f64 v[82:83], v[4:5], -v[10:11]
	s_delay_alu instid0(VALU_DEP_1) | instskip(SKIP_4) | instid1(VALU_DEP_1)
	v_add_f64 v[82:83], v[82:83], v[97:98]
	ds_load_b128 v[97:100], v168
	s_waitcnt lgkmcnt(0)
	v_fma_f64 v[105:106], v[101:102], -0.5, v[97:98]
	v_add_f64 v[101:102], v[10:11], v[8:9]
	v_fma_f64 v[107:108], v[101:102], -0.5, v[99:100]
	s_delay_alu instid0(VALU_DEP_3) | instskip(SKIP_1) | instid1(VALU_DEP_3)
	v_fma_f64 v[101:102], v[109:110], s[8:9], v[105:106]
	v_fma_f64 v[105:106], v[109:110], s[12:13], v[105:106]
	;; [unrolled: 1-line block ×4, first 2 shown]
	s_delay_alu instid0(VALU_DEP_4) | instskip(NEXT) | instid1(VALU_DEP_4)
	v_fma_f64 v[101:102], v[111:112], s[14:15], v[101:102]
	v_fma_f64 v[105:106], v[111:112], s[16:17], v[105:106]
	s_delay_alu instid0(VALU_DEP_4) | instskip(NEXT) | instid1(VALU_DEP_4)
	v_fma_f64 v[103:104], v[119:120], s[16:17], v[103:104]
	v_fma_f64 v[107:108], v[119:120], s[14:15], v[107:108]
	;; [unrolled: 3-line block ×3, first 2 shown]
	v_add_f64 v[105:106], v[6:7], v[30:31]
	v_fma_f64 v[103:104], v[82:83], s[18:19], v[103:104]
	v_fma_f64 v[82:83], v[82:83], s[18:19], v[107:108]
	v_add_f64 v[107:108], v[4:5], v[28:29]
	s_delay_alu instid0(VALU_DEP_4) | instskip(SKIP_1) | instid1(VALU_DEP_3)
	v_fma_f64 v[105:106], v[105:106], -0.5, v[97:98]
	v_add_f64 v[97:98], v[97:98], v[6:7]
	v_fma_f64 v[107:108], v[107:108], -0.5, v[99:100]
	v_add_f64 v[99:100], v[99:100], v[4:5]
	s_delay_alu instid0(VALU_DEP_3) | instskip(NEXT) | instid1(VALU_DEP_3)
	v_add_f64 v[6:7], v[97:98], v[14:15]
	v_fma_f64 v[97:98], v[119:120], s[12:13], v[107:108]
	s_delay_alu instid0(VALU_DEP_3) | instskip(SKIP_1) | instid1(VALU_DEP_4)
	v_add_f64 v[14:15], v[99:100], v[10:11]
	v_add_f64 v[10:11], v[10:11], -v[4:5]
	v_add_f64 v[4:5], v[6:7], v[12:13]
	v_add_f64 v[12:13], v[12:13], -v[30:31]
	s_delay_alu instid0(VALU_DEP_4)
	v_add_f64 v[6:7], v[14:15], v[8:9]
	v_add_f64 v[8:9], v[8:9], -v[28:29]
	v_fma_f64 v[14:15], v[111:112], s[12:13], v[105:106]
	v_add_f64 v[4:5], v[4:5], v[30:31]
	v_fma_f64 v[30:31], v[119:120], s[8:9], v[107:108]
	v_add_f64 v[12:13], v[121:122], v[12:13]
	v_add_f64 v[121:122], v[0:1], -v[56:57]
	v_add_f64 v[119:120], v[18:19], -v[52:53]
	v_add_f64 v[6:7], v[6:7], v[28:29]
	v_fma_f64 v[28:29], v[111:112], s[8:9], v[105:106]
	v_add_f64 v[99:100], v[10:11], v[8:9]
	v_fma_f64 v[8:9], v[109:110], s[14:15], v[14:15]
	v_fma_f64 v[10:11], v[113:114], s[16:17], v[30:31]
	v_add_f64 v[30:31], v[56:57], -v[54:55]
	v_fma_f64 v[14:15], v[109:110], s[16:17], v[28:29]
	v_fma_f64 v[28:29], v[113:114], s[14:15], v[97:98]
	;; [unrolled: 1-line block ×3, first 2 shown]
	v_add_f64 v[97:98], v[16:17], v[54:55]
	v_add_f64 v[113:114], v[2:3], -v[58:59]
	v_fma_f64 v[10:11], v[99:100], s[18:19], v[10:11]
	v_fma_f64 v[12:13], v[12:13], s[18:19], v[14:15]
	;; [unrolled: 1-line block ×3, first 2 shown]
	v_add_f64 v[28:29], v[0:1], -v[16:17]
	s_delay_alu instid0(VALU_DEP_1) | instskip(SKIP_2) | instid1(VALU_DEP_1)
	v_add_f64 v[105:106], v[28:29], v[30:31]
	v_add_f64 v[28:29], v[2:3], -v[18:19]
	v_add_f64 v[30:31], v[58:59], -v[52:53]
	v_add_f64 v[107:108], v[28:29], v[30:31]
	ds_load_b128 v[28:31], v168 offset:1040
	s_waitcnt lgkmcnt(0)
	v_fma_f64 v[109:110], v[97:98], -0.5, v[28:29]
	v_add_f64 v[97:98], v[18:19], v[52:53]
	s_delay_alu instid0(VALU_DEP_1) | instskip(NEXT) | instid1(VALU_DEP_3)
	v_fma_f64 v[111:112], v[97:98], -0.5, v[30:31]
	v_fma_f64 v[97:98], v[113:114], s[8:9], v[109:110]
	v_fma_f64 v[109:110], v[113:114], s[12:13], v[109:110]
	s_delay_alu instid0(VALU_DEP_3) | instskip(SKIP_1) | instid1(VALU_DEP_4)
	v_fma_f64 v[99:100], v[121:122], s[12:13], v[111:112]
	v_fma_f64 v[111:112], v[121:122], s[8:9], v[111:112]
	;; [unrolled: 1-line block ×3, first 2 shown]
	s_delay_alu instid0(VALU_DEP_4) | instskip(NEXT) | instid1(VALU_DEP_4)
	v_fma_f64 v[109:110], v[119:120], s[16:17], v[109:110]
	v_fma_f64 v[99:100], v[127:128], s[16:17], v[99:100]
	s_delay_alu instid0(VALU_DEP_4) | instskip(NEXT) | instid1(VALU_DEP_4)
	v_fma_f64 v[111:112], v[127:128], s[14:15], v[111:112]
	v_fma_f64 v[97:98], v[105:106], s[18:19], v[97:98]
	s_delay_alu instid0(VALU_DEP_4) | instskip(SKIP_4) | instid1(VALU_DEP_4)
	v_fma_f64 v[105:106], v[105:106], s[18:19], v[109:110]
	v_add_f64 v[109:110], v[0:1], v[56:57]
	v_fma_f64 v[99:100], v[107:108], s[18:19], v[99:100]
	v_fma_f64 v[107:108], v[107:108], s[18:19], v[111:112]
	v_add_f64 v[111:112], v[2:3], v[58:59]
	v_fma_f64 v[109:110], v[109:110], -0.5, v[28:29]
	v_add_f64 v[28:29], v[28:29], v[0:1]
	s_delay_alu instid0(VALU_DEP_3) | instskip(SKIP_1) | instid1(VALU_DEP_1)
	v_fma_f64 v[111:112], v[111:112], -0.5, v[30:31]
	v_add_f64 v[30:31], v[30:31], v[2:3]
	v_add_f64 v[2:3], v[30:31], v[18:19]
	s_delay_alu instid0(VALU_DEP_4)
	v_add_f64 v[18:19], v[28:29], v[16:17]
	v_add_f64 v[16:17], v[16:17], -v[0:1]
	v_add_f64 v[28:29], v[52:53], -v[58:59]
	v_fma_f64 v[30:31], v[119:120], s[12:13], v[109:110]
	v_add_f64 v[2:3], v[2:3], v[52:53]
	v_add_f64 v[0:1], v[18:19], v[54:55]
	v_add_f64 v[18:19], v[54:55], -v[56:57]
	v_fma_f64 v[52:53], v[119:120], s[8:9], v[109:110]
	v_fma_f64 v[54:55], v[127:128], s[8:9], v[111:112]
	v_add_f64 v[109:110], v[129:130], v[28:29]
	v_add_f64 v[129:130], v[20:21], -v[76:77]
	v_add_f64 v[2:3], v[2:3], v[58:59]
	v_add_f64 v[0:1], v[0:1], v[56:57]
	v_fma_f64 v[56:57], v[127:128], s[12:13], v[111:112]
	v_add_f64 v[58:59], v[16:17], v[18:19]
	v_fma_f64 v[16:17], v[113:114], s[14:15], v[30:31]
	v_fma_f64 v[28:29], v[113:114], s[16:17], v[52:53]
	;; [unrolled: 1-line block ×3, first 2 shown]
	v_and_b32_e32 v52, 0xffff, v87
	s_delay_alu instid0(VALU_DEP_1) | instskip(NEXT) | instid1(VALU_DEP_1)
	v_mul_u32_u24_e32 v52, 0x41, v52
	v_add_nc_u32_e32 v52, v52, v89
	s_delay_alu instid0(VALU_DEP_1) | instskip(SKIP_4) | instid1(VALU_DEP_4)
	v_lshl_add_u32 v87, v52, 4, v232
	v_fma_f64 v[30:31], v[121:122], s[14:15], v[56:57]
	v_fma_f64 v[16:17], v[58:59], s[18:19], v[16:17]
	;; [unrolled: 1-line block ×5, first 2 shown]
	ds_load_b128 v[52:55], v168 offset:4160
	ds_load_b128 v[56:59], v168 offset:2080
	;; [unrolled: 1-line block ×3, first 2 shown]
	s_waitcnt lgkmcnt(0)
	s_waitcnt_vscnt null, 0x0
	s_barrier
	buffer_gl0_inv
	ds_store_b128 v87, v[4:7]
	v_add_f64 v[4:5], v[22:23], -v[24:25]
	v_add_f64 v[6:7], v[74:75], -v[68:69]
	ds_store_b128 v87, v[101:104] offset:208
	ds_store_b128 v87, v[8:11] offset:416
	;; [unrolled: 1-line block ×3, first 2 shown]
	v_and_b32_e32 v8, 0xffff, v84
	scratch_store_b32 off, v87, off offset:920 ; 4-byte Folded Spill
	ds_store_b128 v87, v[80:83] offset:832
	v_mul_u32_u24_e32 v8, 0x41, v8
	s_delay_alu instid0(VALU_DEP_1) | instskip(NEXT) | instid1(VALU_DEP_1)
	v_add_nc_u32_e32 v8, v8, v85
	v_lshl_add_u32 v169, v8, 4, v232
	ds_store_b128 v169, v[0:3]
	ds_store_b128 v169, v[97:100] offset:208
	ds_store_b128 v169, v[16:19] offset:416
	;; [unrolled: 1-line block ×4, first 2 shown]
	v_and_b32_e32 v0, 0xffff, v90
	s_delay_alu instid0(VALU_DEP_1) | instskip(SKIP_3) | instid1(VALU_DEP_4)
	v_mul_u32_u24_e32 v0, 0x41, v0
	v_add_f64 v[113:114], v[4:5], v[6:7]
	v_add_f64 v[4:5], v[20:21], -v[26:27]
	v_add_f64 v[6:7], v[76:77], -v[70:71]
	v_add_nc_u32_e32 v0, v0, v91
	s_delay_alu instid0(VALU_DEP_1) | instskip(NEXT) | instid1(VALU_DEP_3)
	v_lshl_add_u32 v0, v0, 4, v232
	v_add_f64 v[121:122], v[4:5], v[6:7]
	v_add_f64 v[4:5], v[24:25], v[68:69]
	s_delay_alu instid0(VALU_DEP_1) | instskip(SKIP_1) | instid1(VALU_DEP_1)
	v_fma_f64 v[119:120], v[4:5], -0.5, v[56:57]
	v_add_f64 v[4:5], v[26:27], v[70:71]
	v_fma_f64 v[127:128], v[4:5], -0.5, v[58:59]
	s_delay_alu instid0(VALU_DEP_3) | instskip(SKIP_1) | instid1(VALU_DEP_3)
	v_fma_f64 v[4:5], v[129:130], s[8:9], v[119:120]
	v_fma_f64 v[119:120], v[129:130], s[12:13], v[119:120]
	;; [unrolled: 1-line block ×4, first 2 shown]
	s_delay_alu instid0(VALU_DEP_4) | instskip(NEXT) | instid1(VALU_DEP_4)
	v_fma_f64 v[4:5], v[131:132], s[14:15], v[4:5]
	v_fma_f64 v[119:120], v[131:132], s[16:17], v[119:120]
	s_delay_alu instid0(VALU_DEP_4) | instskip(NEXT) | instid1(VALU_DEP_4)
	v_fma_f64 v[6:7], v[135:136], s[16:17], v[6:7]
	v_fma_f64 v[127:128], v[135:136], s[14:15], v[127:128]
	;; [unrolled: 3-line block ×3, first 2 shown]
	v_add_f64 v[113:114], v[22:23], v[74:75]
	v_fma_f64 v[6:7], v[121:122], s[18:19], v[6:7]
	v_fma_f64 v[121:122], v[121:122], s[18:19], v[127:128]
	v_add_f64 v[127:128], v[20:21], v[76:77]
	s_delay_alu instid0(VALU_DEP_4) | instskip(SKIP_1) | instid1(VALU_DEP_3)
	v_fma_f64 v[113:114], v[113:114], -0.5, v[56:57]
	v_add_f64 v[56:57], v[56:57], v[22:23]
	v_fma_f64 v[127:128], v[127:128], -0.5, v[58:59]
	v_add_f64 v[58:59], v[58:59], v[20:21]
	s_delay_alu instid0(VALU_DEP_3) | instskip(SKIP_1) | instid1(VALU_DEP_3)
	v_add_f64 v[22:23], v[56:57], v[24:25]
	v_add_f64 v[56:57], v[70:71], -v[76:77]
	v_add_f64 v[24:25], v[58:59], v[26:27]
	v_add_f64 v[26:27], v[26:27], -v[20:21]
	s_delay_alu instid0(VALU_DEP_4) | instskip(SKIP_1) | instid1(VALU_DEP_4)
	v_add_f64 v[20:21], v[22:23], v[68:69]
	v_fma_f64 v[58:59], v[131:132], s[12:13], v[113:114]
	v_add_f64 v[22:23], v[24:25], v[70:71]
	v_add_f64 v[24:25], v[68:69], -v[74:75]
	v_fma_f64 v[68:69], v[131:132], s[8:9], v[113:114]
	v_fma_f64 v[70:71], v[135:136], s[8:9], v[127:128]
	v_add_f64 v[20:21], v[20:21], v[74:75]
	v_fma_f64 v[74:75], v[135:136], s[12:13], v[127:128]
	v_add_f64 v[113:114], v[26:27], v[56:57]
	v_add_f64 v[131:132], v[42:43], -v[46:47]
	v_add_f64 v[135:136], v[40:41], -v[44:45]
	v_add_f64 v[22:23], v[22:23], v[76:77]
	v_add_f64 v[76:77], v[137:138], v[24:25]
	v_fma_f64 v[56:57], v[129:130], s[16:17], v[68:69]
	v_fma_f64 v[26:27], v[133:134], s[16:17], v[70:71]
	v_add_f64 v[68:69], v[38:39], -v[40:41]
	v_add_f64 v[70:71], v[48:49], -v[44:45]
	v_fma_f64 v[24:25], v[129:130], s[14:15], v[58:59]
	v_fma_f64 v[58:59], v[133:134], s[14:15], v[74:75]
	v_add_f64 v[129:130], v[36:37], -v[50:51]
	v_add_f64 v[133:134], v[38:39], -v[48:49]
	;; [unrolled: 1-line block ×3, first 2 shown]
	v_fma_f64 v[56:57], v[76:77], s[18:19], v[56:57]
	v_fma_f64 v[26:27], v[113:114], s[18:19], v[26:27]
	v_add_f64 v[74:75], v[68:69], v[70:71]
	v_add_f64 v[68:69], v[36:37], -v[42:43]
	v_add_f64 v[70:71], v[50:51], -v[46:47]
	v_fma_f64 v[24:25], v[76:77], s[18:19], v[24:25]
	v_fma_f64 v[58:59], v[113:114], s[18:19], v[58:59]
	ds_store_b128 v0, v[20:23]
	ds_store_b128 v0, v[4:7] offset:208
	ds_store_b128 v0, v[24:27] offset:416
	;; [unrolled: 1-line block ×3, first 2 shown]
	v_add_f64 v[76:77], v[68:69], v[70:71]
	v_add_f64 v[68:69], v[40:41], v[44:45]
	scratch_store_b32 off, v0, off offset:924 ; 4-byte Folded Spill
	ds_store_b128 v0, v[119:122] offset:832
	v_mad_u16 v0, 0x41, v92, v93
	v_lshlrev_b32_e32 v119, 6, v231
	s_delay_alu instid0(VALU_DEP_2) | instskip(NEXT) | instid1(VALU_DEP_1)
	v_and_b32_e32 v0, 0xffff, v0
	v_lshl_add_u32 v0, v0, 4, v232
	v_fma_f64 v[113:114], v[68:69], -0.5, v[109:110]
	v_add_f64 v[68:69], v[42:43], v[46:47]
	s_delay_alu instid0(VALU_DEP_1) | instskip(NEXT) | instid1(VALU_DEP_3)
	v_fma_f64 v[127:128], v[68:69], -0.5, v[111:112]
	v_fma_f64 v[68:69], v[129:130], s[8:9], v[113:114]
	v_fma_f64 v[113:114], v[129:130], s[12:13], v[113:114]
	s_delay_alu instid0(VALU_DEP_3) | instskip(SKIP_1) | instid1(VALU_DEP_4)
	v_fma_f64 v[70:71], v[133:134], s[12:13], v[127:128]
	v_fma_f64 v[127:128], v[133:134], s[8:9], v[127:128]
	;; [unrolled: 1-line block ×3, first 2 shown]
	s_delay_alu instid0(VALU_DEP_4) | instskip(NEXT) | instid1(VALU_DEP_4)
	v_fma_f64 v[113:114], v[131:132], s[16:17], v[113:114]
	v_fma_f64 v[70:71], v[135:136], s[16:17], v[70:71]
	s_delay_alu instid0(VALU_DEP_4) | instskip(NEXT) | instid1(VALU_DEP_4)
	v_fma_f64 v[127:128], v[135:136], s[14:15], v[127:128]
	v_fma_f64 v[68:69], v[74:75], s[18:19], v[68:69]
	s_delay_alu instid0(VALU_DEP_4) | instskip(SKIP_4) | instid1(VALU_DEP_4)
	v_fma_f64 v[74:75], v[74:75], s[18:19], v[113:114]
	v_add_f64 v[113:114], v[38:39], v[48:49]
	v_fma_f64 v[70:71], v[76:77], s[18:19], v[70:71]
	v_fma_f64 v[76:77], v[76:77], s[18:19], v[127:128]
	v_add_f64 v[127:128], v[36:37], v[50:51]
	v_fma_f64 v[113:114], v[113:114], -0.5, v[109:110]
	v_add_f64 v[109:110], v[109:110], v[38:39]
	s_delay_alu instid0(VALU_DEP_3) | instskip(SKIP_1) | instid1(VALU_DEP_3)
	v_fma_f64 v[127:128], v[127:128], -0.5, v[111:112]
	v_add_f64 v[111:112], v[111:112], v[36:37]
	v_add_f64 v[38:39], v[109:110], v[40:41]
	s_delay_alu instid0(VALU_DEP_3) | instskip(NEXT) | instid1(VALU_DEP_3)
	v_fma_f64 v[109:110], v[135:136], s[12:13], v[127:128]
	v_add_f64 v[40:41], v[111:112], v[42:43]
	v_add_f64 v[42:43], v[42:43], -v[36:37]
	s_delay_alu instid0(VALU_DEP_4) | instskip(NEXT) | instid1(VALU_DEP_3)
	v_add_f64 v[36:37], v[38:39], v[44:45]
	v_add_f64 v[38:39], v[40:41], v[46:47]
	v_add_f64 v[40:41], v[44:45], -v[48:49]
	s_delay_alu instid0(VALU_DEP_3)
	v_add_f64 v[36:37], v[36:37], v[48:49]
	v_add_f64 v[44:45], v[46:47], -v[50:51]
	v_fma_f64 v[48:49], v[131:132], s[8:9], v[113:114]
	v_fma_f64 v[46:47], v[131:132], s[12:13], v[113:114]
	v_add_f64 v[131:132], v[32:33], -v[78:79]
	v_add_f64 v[38:39], v[38:39], v[50:51]
	v_fma_f64 v[50:51], v[135:136], s[8:9], v[127:128]
	v_add_f64 v[111:112], v[137:138], v[40:41]
	v_add_f64 v[113:114], v[42:43], v[44:45]
	v_fma_f64 v[44:45], v[129:130], s[16:17], v[48:49]
	v_add_f64 v[48:49], v[60:61], -v[34:35]
	v_fma_f64 v[40:41], v[129:130], s[14:15], v[46:47]
	v_fma_f64 v[46:47], v[133:134], s[14:15], v[109:110]
	v_add_f64 v[129:130], v[62:63], -v[64:65]
	v_add_f64 v[135:136], v[34:35], -v[72:73]
	;; [unrolled: 1-line block ×3, first 2 shown]
	v_fma_f64 v[42:43], v[133:134], s[16:17], v[50:51]
	v_add_f64 v[50:51], v[66:67], -v[72:73]
	v_add_f64 v[133:134], v[60:61], -v[66:67]
	v_fma_f64 v[44:45], v[111:112], s[18:19], v[44:45]
	v_fma_f64 v[40:41], v[111:112], s[18:19], v[40:41]
	;; [unrolled: 1-line block ×4, first 2 shown]
	v_add_f64 v[109:110], v[48:49], v[50:51]
	v_add_f64 v[48:49], v[62:63], -v[32:33]
	v_add_f64 v[50:51], v[64:65], -v[78:79]
	ds_store_b128 v0, v[36:39]
	ds_store_b128 v0, v[68:71] offset:208
	ds_store_b128 v0, v[40:43] offset:416
	;; [unrolled: 1-line block ×3, first 2 shown]
	scratch_store_b32 off, v0, off offset:908 ; 4-byte Folded Spill
	ds_store_b128 v0, v[74:77] offset:832
	v_mad_u16 v0, 0x41, v94, v95
	v_add_f64 v[111:112], v[48:49], v[50:51]
	v_add_f64 v[48:49], v[34:35], v[72:73]
	s_delay_alu instid0(VALU_DEP_3) | instskip(NEXT) | instid1(VALU_DEP_1)
	v_and_b32_e32 v0, 0xffff, v0
	v_lshl_add_u32 v0, v0, 4, v232
	s_delay_alu instid0(VALU_DEP_3) | instskip(SKIP_1) | instid1(VALU_DEP_1)
	v_fma_f64 v[113:114], v[48:49], -0.5, v[52:53]
	v_add_f64 v[48:49], v[32:33], v[78:79]
	v_fma_f64 v[127:128], v[48:49], -0.5, v[54:55]
	s_delay_alu instid0(VALU_DEP_3) | instskip(SKIP_1) | instid1(VALU_DEP_3)
	v_fma_f64 v[48:49], v[129:130], s[12:13], v[113:114]
	v_fma_f64 v[113:114], v[129:130], s[8:9], v[113:114]
	;; [unrolled: 1-line block ×3, first 2 shown]
	s_delay_alu instid0(VALU_DEP_3) | instskip(SKIP_1) | instid1(VALU_DEP_4)
	v_fma_f64 v[48:49], v[131:132], s[14:15], v[48:49]
	v_fma_f64 v[127:128], v[133:134], s[12:13], v[127:128]
	;; [unrolled: 1-line block ×3, first 2 shown]
	s_delay_alu instid0(VALU_DEP_4) | instskip(NEXT) | instid1(VALU_DEP_4)
	v_fma_f64 v[50:51], v[135:136], s[16:17], v[50:51]
	v_fma_f64 v[48:49], v[109:110], s[18:19], v[48:49]
	s_delay_alu instid0(VALU_DEP_4) | instskip(NEXT) | instid1(VALU_DEP_4)
	v_fma_f64 v[127:128], v[135:136], s[14:15], v[127:128]
	v_fma_f64 v[109:110], v[109:110], s[18:19], v[113:114]
	v_add_f64 v[113:114], v[60:61], v[66:67]
	v_fma_f64 v[50:51], v[111:112], s[18:19], v[50:51]
	s_delay_alu instid0(VALU_DEP_4) | instskip(SKIP_1) | instid1(VALU_DEP_4)
	v_fma_f64 v[111:112], v[111:112], s[18:19], v[127:128]
	v_add_f64 v[127:128], v[62:63], v[64:65]
	v_fma_f64 v[113:114], v[113:114], -0.5, v[52:53]
	v_add_f64 v[52:53], v[52:53], v[34:35]
	s_delay_alu instid0(VALU_DEP_3) | instskip(SKIP_1) | instid1(VALU_DEP_3)
	v_fma_f64 v[127:128], v[127:128], -0.5, v[54:55]
	v_add_f64 v[54:55], v[54:55], v[32:33]
	v_add_f64 v[34:35], v[52:53], v[60:61]
	v_add_f64 v[60:61], v[78:79], -v[64:65]
	s_delay_alu instid0(VALU_DEP_3) | instskip(SKIP_1) | instid1(VALU_DEP_4)
	v_add_f64 v[52:53], v[54:55], v[62:63]
	v_add_f64 v[54:55], v[32:33], -v[62:63]
	v_add_f64 v[32:33], v[34:35], v[66:67]
	v_fma_f64 v[62:63], v[131:132], s[8:9], v[113:114]
	s_delay_alu instid0(VALU_DEP_4) | instskip(SKIP_1) | instid1(VALU_DEP_4)
	v_add_f64 v[34:35], v[52:53], v[64:65]
	v_add_f64 v[52:53], v[72:73], -v[66:67]
	v_add_f64 v[32:33], v[32:33], v[72:73]
	v_fma_f64 v[64:65], v[131:132], s[12:13], v[113:114]
	v_fma_f64 v[72:73], v[135:136], s[8:9], v[127:128]
	;; [unrolled: 1-line block ×3, first 2 shown]
	v_add_f64 v[113:114], v[54:55], v[60:61]
	v_add_f64 v[34:35], v[34:35], v[78:79]
	;; [unrolled: 1-line block ×3, first 2 shown]
	v_fma_f64 v[52:53], v[129:130], s[14:15], v[62:63]
	v_fma_f64 v[60:61], v[129:130], s[16:17], v[64:65]
	;; [unrolled: 1-line block ×4, first 2 shown]
	s_delay_alu instid0(VALU_DEP_4) | instskip(NEXT) | instid1(VALU_DEP_4)
	v_fma_f64 v[52:53], v[78:79], s[18:19], v[52:53]
	v_fma_f64 v[60:61], v[78:79], s[18:19], v[60:61]
	s_delay_alu instid0(VALU_DEP_4) | instskip(NEXT) | instid1(VALU_DEP_4)
	v_fma_f64 v[62:63], v[113:114], s[18:19], v[62:63]
	v_fma_f64 v[54:55], v[113:114], s[18:19], v[54:55]
	ds_store_b128 v0, v[32:35]
	ds_store_b128 v0, v[52:55] offset:208
	ds_store_b128 v0, v[48:51] offset:416
	;; [unrolled: 1-line block ×3, first 2 shown]
	scratch_store_b32 off, v0, off offset:900 ; 4-byte Folded Spill
	ds_store_b128 v0, v[60:63] offset:832
	s_waitcnt lgkmcnt(0)
	s_waitcnt_vscnt null, 0x0
	s_barrier
	buffer_gl0_inv
	s_clause 0x3
	global_load_b128 v[128:131], v119, s[2:3] offset:832
	global_load_b128 v[228:231], v119, s[2:3] offset:848
	;; [unrolled: 1-line block ×4, first 2 shown]
	ds_load_b128 v[0:3], v168 offset:5200
	ds_load_b128 v[32:35], v168
	s_waitcnt vmcnt(3) lgkmcnt(1)
	v_mul_f64 v[4:5], v[2:3], v[130:131]
	s_delay_alu instid0(VALU_DEP_1) | instskip(SKIP_1) | instid1(VALU_DEP_1)
	v_fma_f64 v[36:37], v[0:1], v[128:129], -v[4:5]
	v_mul_f64 v[0:1], v[0:1], v[130:131]
	v_fma_f64 v[38:39], v[2:3], v[128:129], v[0:1]
	ds_load_b128 v[0:3], v168 offset:10400
	s_waitcnt vmcnt(2) lgkmcnt(0)
	v_mul_f64 v[4:5], v[2:3], v[230:231]
	s_delay_alu instid0(VALU_DEP_1) | instskip(SKIP_1) | instid1(VALU_DEP_1)
	v_fma_f64 v[40:41], v[0:1], v[228:229], -v[4:5]
	v_mul_f64 v[0:1], v[0:1], v[230:231]
	v_fma_f64 v[42:43], v[2:3], v[228:229], v[0:1]
	ds_load_b128 v[0:3], v168 offset:15600
	s_waitcnt vmcnt(1) lgkmcnt(0)
	v_mul_f64 v[4:5], v[2:3], v[226:227]
	s_delay_alu instid0(VALU_DEP_1) | instskip(SKIP_1) | instid1(VALU_DEP_2)
	v_fma_f64 v[44:45], v[0:1], v[224:225], -v[4:5]
	v_mul_f64 v[0:1], v[0:1], v[226:227]
	v_add_f64 v[146:147], v[40:41], -v[44:45]
	s_delay_alu instid0(VALU_DEP_2) | instskip(SKIP_4) | instid1(VALU_DEP_2)
	v_fma_f64 v[46:47], v[2:3], v[224:225], v[0:1]
	ds_load_b128 v[0:3], v168 offset:20800
	s_waitcnt vmcnt(0) lgkmcnt(0)
	v_mul_f64 v[4:5], v[2:3], v[222:223]
	v_add_f64 v[98:99], v[42:43], -v[46:47]
	v_fma_f64 v[48:49], v[0:1], v[220:221], -v[4:5]
	v_mul_f64 v[0:1], v[0:1], v[222:223]
	s_delay_alu instid0(VALU_DEP_2) | instskip(NEXT) | instid1(VALU_DEP_2)
	v_add_f64 v[144:145], v[36:37], -v[48:49]
	v_fma_f64 v[50:51], v[2:3], v[220:221], v[0:1]
	ds_load_b128 v[0:3], v168 offset:6240
	s_waitcnt lgkmcnt(0)
	v_mul_f64 v[4:5], v[2:3], v[130:131]
	s_delay_alu instid0(VALU_DEP_1) | instskip(SKIP_1) | instid1(VALU_DEP_1)
	v_fma_f64 v[52:53], v[0:1], v[128:129], -v[4:5]
	v_mul_f64 v[0:1], v[0:1], v[130:131]
	v_fma_f64 v[54:55], v[2:3], v[128:129], v[0:1]
	ds_load_b128 v[0:3], v168 offset:11440
	s_waitcnt lgkmcnt(0)
	v_mul_f64 v[4:5], v[2:3], v[230:231]
	s_delay_alu instid0(VALU_DEP_1) | instskip(SKIP_1) | instid1(VALU_DEP_1)
	v_fma_f64 v[56:57], v[0:1], v[228:229], -v[4:5]
	v_mul_f64 v[0:1], v[0:1], v[230:231]
	v_fma_f64 v[58:59], v[2:3], v[228:229], v[0:1]
	ds_load_b128 v[0:3], v168 offset:16640
	s_waitcnt lgkmcnt(0)
	v_mul_f64 v[4:5], v[2:3], v[226:227]
	s_delay_alu instid0(VALU_DEP_1) | instskip(SKIP_1) | instid1(VALU_DEP_1)
	v_fma_f64 v[60:61], v[0:1], v[224:225], -v[4:5]
	v_mul_f64 v[0:1], v[0:1], v[226:227]
	v_fma_f64 v[62:63], v[2:3], v[224:225], v[0:1]
	ds_load_b128 v[0:3], v168 offset:21840
	s_waitcnt lgkmcnt(0)
	v_mul_f64 v[4:5], v[2:3], v[222:223]
	s_delay_alu instid0(VALU_DEP_1) | instskip(SKIP_1) | instid1(VALU_DEP_1)
	v_fma_f64 v[64:65], v[0:1], v[220:221], -v[4:5]
	v_mul_f64 v[0:1], v[0:1], v[222:223]
	v_fma_f64 v[66:67], v[2:3], v[220:221], v[0:1]
	v_mul_lo_u16 v0, 0xfd, v86
	s_delay_alu instid0(VALU_DEP_1) | instskip(NEXT) | instid1(VALU_DEP_1)
	v_lshrrev_b16 v0, 14, v0
	v_mul_lo_u16 v0, 0x41, v0
	s_delay_alu instid0(VALU_DEP_1) | instskip(NEXT) | instid1(VALU_DEP_1)
	v_sub_nc_u16 v0, v116, v0
	v_and_b32_e32 v120, 0xff, v0
	ds_load_b128 v[0:3], v168 offset:7280
	v_lshlrev_b32_e32 v6, 6, v120
	s_clause 0x3
	global_load_b128 v[244:247], v6, s[2:3] offset:832
	global_load_b128 v[236:239], v6, s[2:3] offset:848
	;; [unrolled: 1-line block ×4, first 2 shown]
	s_waitcnt vmcnt(3) lgkmcnt(0)
	v_mul_f64 v[4:5], v[2:3], v[246:247]
	s_delay_alu instid0(VALU_DEP_1) | instskip(SKIP_1) | instid1(VALU_DEP_1)
	v_fma_f64 v[72:73], v[0:1], v[244:245], -v[4:5]
	v_mul_f64 v[0:1], v[0:1], v[246:247]
	v_fma_f64 v[74:75], v[2:3], v[244:245], v[0:1]
	ds_load_b128 v[0:3], v168 offset:12480
	s_waitcnt vmcnt(2) lgkmcnt(0)
	v_mul_f64 v[4:5], v[2:3], v[238:239]
	s_delay_alu instid0(VALU_DEP_1) | instskip(SKIP_1) | instid1(VALU_DEP_1)
	v_fma_f64 v[76:77], v[0:1], v[236:237], -v[4:5]
	v_mul_f64 v[0:1], v[0:1], v[238:239]
	v_fma_f64 v[78:79], v[2:3], v[236:237], v[0:1]
	ds_load_b128 v[0:3], v168 offset:17680
	s_waitcnt vmcnt(1) lgkmcnt(0)
	v_mul_f64 v[4:5], v[2:3], v[242:243]
	s_delay_alu instid0(VALU_DEP_1) | instskip(SKIP_1) | instid1(VALU_DEP_2)
	v_fma_f64 v[80:81], v[0:1], v[240:241], -v[4:5]
	v_mul_f64 v[0:1], v[0:1], v[242:243]
	v_add_f64 v[150:151], v[76:77], -v[80:81]
	s_delay_alu instid0(VALU_DEP_2) | instskip(SKIP_3) | instid1(VALU_DEP_1)
	v_fma_f64 v[82:83], v[2:3], v[240:241], v[0:1]
	ds_load_b128 v[0:3], v168 offset:22880
	s_waitcnt vmcnt(0) lgkmcnt(0)
	v_mul_f64 v[4:5], v[2:3], v[234:235]
	v_fma_f64 v[84:85], v[0:1], v[232:233], -v[4:5]
	v_mul_f64 v[0:1], v[0:1], v[234:235]
	ds_load_b128 v[4:7], v168 offset:8320
	v_add_f64 v[148:149], v[72:73], -v[84:85]
	v_fma_f64 v[86:87], v[2:3], v[232:233], v[0:1]
	v_mul_u32_u24_e32 v0, 0xfc1, v88
	s_delay_alu instid0(VALU_DEP_1) | instskip(NEXT) | instid1(VALU_DEP_1)
	v_lshrrev_b32_e32 v0, 18, v0
	v_mul_lo_u16 v0, 0x41, v0
	s_delay_alu instid0(VALU_DEP_1) | instskip(NEXT) | instid1(VALU_DEP_1)
	v_sub_nc_u16 v121, v118, v0
	v_lshlrev_b16 v0, 6, v121
	s_delay_alu instid0(VALU_DEP_1) | instskip(NEXT) | instid1(VALU_DEP_1)
	v_and_b32_e32 v0, 0xffff, v0
	v_add_co_u32 v8, s0, s2, v0
	s_delay_alu instid0(VALU_DEP_1)
	v_add_co_ci_u32_e64 v9, null, s3, 0, s0
	s_clause 0x3
	global_load_b128 v[0:3], v[8:9], off offset:832
	global_load_b128 v[252:255], v[8:9], off offset:848
	;; [unrolled: 1-line block ×4, first 2 shown]
	s_waitcnt vmcnt(3) lgkmcnt(0)
	v_mul_f64 v[10:11], v[6:7], v[2:3]
	s_delay_alu instid0(VALU_DEP_1) | instskip(SKIP_1) | instid1(VALU_DEP_1)
	v_fma_f64 v[90:91], v[4:5], v[0:1], -v[10:11]
	v_mul_f64 v[4:5], v[4:5], v[2:3]
	v_fma_f64 v[88:89], v[6:7], v[0:1], v[4:5]
	ds_load_b128 v[4:7], v168 offset:13520
	s_waitcnt vmcnt(2) lgkmcnt(0)
	v_mul_f64 v[10:11], v[6:7], v[254:255]
	s_delay_alu instid0(VALU_DEP_1) | instskip(SKIP_1) | instid1(VALU_DEP_2)
	v_fma_f64 v[94:95], v[4:5], v[252:253], -v[10:11]
	v_mul_f64 v[4:5], v[4:5], v[254:255]
	v_add_f64 v[156:157], v[94:95], -v[90:91]
	s_delay_alu instid0(VALU_DEP_2) | instskip(SKIP_3) | instid1(VALU_DEP_1)
	v_fma_f64 v[92:93], v[6:7], v[252:253], v[4:5]
	ds_load_b128 v[4:7], v168 offset:18720
	s_waitcnt vmcnt(1) lgkmcnt(0)
	v_mul_f64 v[10:11], v[6:7], v[250:251]
	v_fma_f64 v[136:137], v[4:5], v[248:249], -v[10:11]
	v_mul_f64 v[4:5], v[4:5], v[250:251]
	s_delay_alu instid0(VALU_DEP_2) | instskip(NEXT) | instid1(VALU_DEP_2)
	v_add_f64 v[154:155], v[94:95], -v[136:137]
	v_fma_f64 v[138:139], v[6:7], v[248:249], v[4:5]
	ds_load_b128 v[4:7], v168 offset:23920
	s_waitcnt vmcnt(0) lgkmcnt(0)
	v_mul_f64 v[8:9], v[6:7], v[14:15]
	s_delay_alu instid0(VALU_DEP_1) | instskip(SKIP_1) | instid1(VALU_DEP_2)
	v_fma_f64 v[140:141], v[4:5], v[12:13], -v[8:9]
	v_mul_f64 v[4:5], v[4:5], v[14:15]
	v_add_f64 v[152:153], v[90:91], -v[140:141]
	s_delay_alu instid0(VALU_DEP_2) | instskip(SKIP_2) | instid1(VALU_DEP_2)
	v_fma_f64 v[142:143], v[6:7], v[12:13], v[4:5]
	v_mul_u32_u24_e32 v4, 0xfc1, v96
	v_add_f64 v[96:97], v[38:39], -v[50:51]
	v_lshrrev_b32_e32 v4, 18, v4
	s_delay_alu instid0(VALU_DEP_1) | instskip(NEXT) | instid1(VALU_DEP_1)
	v_mul_lo_u16 v4, 0x41, v4
	v_sub_nc_u16 v122, v117, v4
	s_delay_alu instid0(VALU_DEP_1) | instskip(NEXT) | instid1(VALU_DEP_1)
	v_lshlrev_b16 v4, 6, v122
	v_and_b32_e32 v4, 0xffff, v4
	s_delay_alu instid0(VALU_DEP_1) | instskip(NEXT) | instid1(VALU_DEP_1)
	v_add_co_u32 v24, s0, s2, v4
	v_add_co_ci_u32_e64 v25, null, s3, 0, s0
	ds_load_b128 v[4:7], v168 offset:9360
	s_clause 0x1
	global_load_b128 v[20:23], v[24:25], off offset:832
	global_load_b128 v[16:19], v[24:25], off offset:848
	s_waitcnt vmcnt(1) lgkmcnt(0)
	v_mul_f64 v[8:9], v[6:7], v[22:23]
	s_delay_alu instid0(VALU_DEP_1) | instskip(SKIP_1) | instid1(VALU_DEP_1)
	v_fma_f64 v[102:103], v[4:5], v[20:21], -v[8:9]
	v_mul_f64 v[4:5], v[4:5], v[22:23]
	v_fma_f64 v[100:101], v[6:7], v[20:21], v[4:5]
	ds_load_b128 v[4:7], v168 offset:14560
	s_waitcnt vmcnt(0) lgkmcnt(0)
	v_mul_f64 v[8:9], v[6:7], v[18:19]
	s_delay_alu instid0(VALU_DEP_1)
	v_fma_f64 v[106:107], v[4:5], v[16:17], -v[8:9]
	v_mul_f64 v[4:5], v[4:5], v[18:19]
	ds_load_b128 v[8:11], v168 offset:19760
	v_add_f64 v[160:161], v[106:107], -v[102:103]
	v_fma_f64 v[104:105], v[6:7], v[16:17], v[4:5]
	global_load_b128 v[4:7], v[24:25], off offset:864
	s_waitcnt vmcnt(0) lgkmcnt(0)
	v_mul_f64 v[26:27], v[10:11], v[6:7]
	s_delay_alu instid0(VALU_DEP_1) | instskip(SKIP_1) | instid1(VALU_DEP_2)
	v_fma_f64 v[110:111], v[8:9], v[4:5], -v[26:27]
	v_mul_f64 v[8:9], v[8:9], v[6:7]
	v_add_f64 v[158:159], v[106:107], -v[110:111]
	s_delay_alu instid0(VALU_DEP_2) | instskip(SKIP_4) | instid1(VALU_DEP_1)
	v_fma_f64 v[108:109], v[10:11], v[4:5], v[8:9]
	global_load_b128 v[8:11], v[24:25], off offset:880
	ds_load_b128 v[24:27], v168 offset:24960
	s_waitcnt vmcnt(0) lgkmcnt(0)
	v_mul_f64 v[28:29], v[26:27], v[10:11]
	v_fma_f64 v[112:113], v[24:25], v[8:9], -v[28:29]
	v_mul_f64 v[24:25], v[24:25], v[10:11]
	s_delay_alu instid0(VALU_DEP_1) | instskip(SKIP_2) | instid1(VALU_DEP_1)
	v_fma_f64 v[114:115], v[26:27], v[8:9], v[24:25]
	v_add_f64 v[24:25], v[36:37], -v[40:41]
	v_add_f64 v[26:27], v[48:49], -v[44:45]
	v_add_f64 v[28:29], v[24:25], v[26:27]
	v_add_f64 v[24:25], v[38:39], -v[42:43]
	v_add_f64 v[26:27], v[50:51], -v[46:47]
	s_delay_alu instid0(VALU_DEP_1) | instskip(SKIP_1) | instid1(VALU_DEP_1)
	v_add_f64 v[30:31], v[24:25], v[26:27]
	v_add_f64 v[24:25], v[40:41], v[44:45]
	v_fma_f64 v[68:69], v[24:25], -0.5, v[32:33]
	v_add_f64 v[24:25], v[42:43], v[46:47]
	s_delay_alu instid0(VALU_DEP_1) | instskip(NEXT) | instid1(VALU_DEP_3)
	v_fma_f64 v[70:71], v[24:25], -0.5, v[34:35]
	v_fma_f64 v[24:25], v[96:97], s[8:9], v[68:69]
	v_fma_f64 v[68:69], v[96:97], s[12:13], v[68:69]
	s_delay_alu instid0(VALU_DEP_3) | instskip(SKIP_1) | instid1(VALU_DEP_4)
	v_fma_f64 v[26:27], v[144:145], s[12:13], v[70:71]
	v_fma_f64 v[70:71], v[144:145], s[8:9], v[70:71]
	;; [unrolled: 1-line block ×3, first 2 shown]
	s_delay_alu instid0(VALU_DEP_4) | instskip(NEXT) | instid1(VALU_DEP_4)
	v_fma_f64 v[68:69], v[98:99], s[16:17], v[68:69]
	v_fma_f64 v[26:27], v[146:147], s[16:17], v[26:27]
	s_delay_alu instid0(VALU_DEP_4) | instskip(NEXT) | instid1(VALU_DEP_4)
	v_fma_f64 v[70:71], v[146:147], s[14:15], v[70:71]
	v_fma_f64 v[24:25], v[28:29], s[18:19], v[24:25]
	s_delay_alu instid0(VALU_DEP_4) | instskip(SKIP_4) | instid1(VALU_DEP_4)
	v_fma_f64 v[28:29], v[28:29], s[18:19], v[68:69]
	v_add_f64 v[68:69], v[36:37], v[48:49]
	v_fma_f64 v[26:27], v[30:31], s[18:19], v[26:27]
	v_fma_f64 v[30:31], v[30:31], s[18:19], v[70:71]
	v_add_f64 v[70:71], v[38:39], v[50:51]
	v_fma_f64 v[68:69], v[68:69], -0.5, v[32:33]
	v_add_f64 v[32:33], v[32:33], v[36:37]
	v_add_f64 v[36:37], v[40:41], -v[36:37]
	s_delay_alu instid0(VALU_DEP_4) | instskip(SKIP_4) | instid1(VALU_DEP_4)
	v_fma_f64 v[70:71], v[70:71], -0.5, v[34:35]
	v_add_f64 v[34:35], v[34:35], v[38:39]
	v_add_f64 v[38:39], v[42:43], -v[38:39]
	v_add_f64 v[32:33], v[32:33], v[40:41]
	v_add_f64 v[40:41], v[44:45], -v[48:49]
	v_add_f64 v[34:35], v[34:35], v[42:43]
	v_fma_f64 v[42:43], v[98:99], s[8:9], v[68:69]
	s_delay_alu instid0(VALU_DEP_4)
	v_add_f64 v[32:33], v[32:33], v[44:45]
	v_fma_f64 v[44:45], v[146:147], s[8:9], v[70:71]
	v_add_f64 v[36:37], v[36:37], v[40:41]
	v_add_f64 v[34:35], v[34:35], v[46:47]
	v_fma_f64 v[40:41], v[96:97], s[16:17], v[42:43]
	v_add_f64 v[132:133], v[32:33], v[48:49]
	v_add_f64 v[32:33], v[46:47], -v[50:51]
	v_fma_f64 v[46:47], v[146:147], s[12:13], v[70:71]
	v_add_f64 v[146:147], v[56:57], -v[60:61]
	v_add_f64 v[134:135], v[34:35], v[50:51]
	v_fma_f64 v[34:35], v[98:99], s[12:13], v[68:69]
	ds_load_b128 v[48:51], v168 offset:1040
	v_add_f64 v[38:39], v[38:39], v[32:33]
	v_fma_f64 v[42:43], v[144:145], s[14:15], v[46:47]
	v_add_f64 v[98:99], v[58:59], -v[62:63]
	v_fma_f64 v[32:33], v[96:97], s[14:15], v[34:35]
	v_fma_f64 v[34:35], v[144:145], s[16:17], v[44:45]
	v_add_f64 v[96:97], v[54:55], -v[66:67]
	v_add_f64 v[144:145], v[52:53], -v[64:65]
	s_delay_alu instid0(VALU_DEP_4) | instskip(NEXT) | instid1(VALU_DEP_4)
	v_fma_f64 v[32:33], v[36:37], s[18:19], v[32:33]
	v_fma_f64 v[34:35], v[38:39], s[18:19], v[34:35]
	;; [unrolled: 1-line block ×4, first 2 shown]
	v_add_f64 v[40:41], v[52:53], -v[56:57]
	v_add_f64 v[42:43], v[64:65], -v[60:61]
	s_delay_alu instid0(VALU_DEP_1) | instskip(SKIP_2) | instid1(VALU_DEP_1)
	v_add_f64 v[44:45], v[40:41], v[42:43]
	v_add_f64 v[40:41], v[54:55], -v[58:59]
	v_add_f64 v[42:43], v[66:67], -v[62:63]
	v_add_f64 v[46:47], v[40:41], v[42:43]
	v_add_f64 v[40:41], v[56:57], v[60:61]
	s_waitcnt lgkmcnt(0)
	s_delay_alu instid0(VALU_DEP_1) | instskip(SKIP_1) | instid1(VALU_DEP_1)
	v_fma_f64 v[68:69], v[40:41], -0.5, v[48:49]
	v_add_f64 v[40:41], v[58:59], v[62:63]
	v_fma_f64 v[70:71], v[40:41], -0.5, v[50:51]
	s_delay_alu instid0(VALU_DEP_3) | instskip(SKIP_1) | instid1(VALU_DEP_3)
	v_fma_f64 v[40:41], v[96:97], s[8:9], v[68:69]
	v_fma_f64 v[68:69], v[96:97], s[12:13], v[68:69]
	;; [unrolled: 1-line block ×4, first 2 shown]
	s_delay_alu instid0(VALU_DEP_4) | instskip(NEXT) | instid1(VALU_DEP_4)
	v_fma_f64 v[40:41], v[98:99], s[14:15], v[40:41]
	v_fma_f64 v[68:69], v[98:99], s[16:17], v[68:69]
	s_delay_alu instid0(VALU_DEP_4) | instskip(NEXT) | instid1(VALU_DEP_4)
	v_fma_f64 v[42:43], v[146:147], s[16:17], v[42:43]
	v_fma_f64 v[70:71], v[146:147], s[14:15], v[70:71]
	;; [unrolled: 3-line block ×3, first 2 shown]
	v_add_f64 v[68:69], v[52:53], v[64:65]
	v_fma_f64 v[42:43], v[46:47], s[18:19], v[42:43]
	v_fma_f64 v[46:47], v[46:47], s[18:19], v[70:71]
	v_add_f64 v[70:71], v[54:55], v[66:67]
	s_delay_alu instid0(VALU_DEP_4) | instskip(SKIP_2) | instid1(VALU_DEP_4)
	v_fma_f64 v[68:69], v[68:69], -0.5, v[48:49]
	v_add_f64 v[48:49], v[48:49], v[52:53]
	v_add_f64 v[52:53], v[56:57], -v[52:53]
	v_fma_f64 v[70:71], v[70:71], -0.5, v[50:51]
	v_add_f64 v[50:51], v[50:51], v[54:55]
	v_add_f64 v[54:55], v[58:59], -v[54:55]
	v_add_f64 v[48:49], v[48:49], v[56:57]
	v_add_f64 v[56:57], v[60:61], -v[64:65]
	s_delay_alu instid0(VALU_DEP_4) | instskip(SKIP_1) | instid1(VALU_DEP_4)
	v_add_f64 v[50:51], v[50:51], v[58:59]
	v_add_f64 v[58:59], v[62:63], -v[66:67]
	v_add_f64 v[48:49], v[48:49], v[60:61]
	v_fma_f64 v[60:61], v[98:99], s[12:13], v[68:69]
	v_add_f64 v[56:57], v[52:53], v[56:57]
	v_add_f64 v[50:51], v[50:51], v[62:63]
	v_fma_f64 v[62:63], v[98:99], s[8:9], v[68:69]
	v_add_f64 v[48:49], v[48:49], v[64:65]
	v_fma_f64 v[64:65], v[146:147], s[8:9], v[70:71]
	;; [unrolled: 2-line block ×4, first 2 shown]
	v_fma_f64 v[60:61], v[96:97], s[16:17], v[62:63]
	v_fma_f64 v[54:55], v[144:145], s[16:17], v[64:65]
	ds_load_b128 v[68:71], v168 offset:2080
	v_fma_f64 v[52:53], v[56:57], s[18:19], v[52:53]
	v_add_f64 v[146:147], v[78:79], -v[82:83]
	v_fma_f64 v[62:63], v[144:145], s[14:15], v[66:67]
	v_fma_f64 v[56:57], v[56:57], s[18:19], v[60:61]
	v_fma_f64 v[54:55], v[58:59], s[18:19], v[54:55]
	v_add_f64 v[60:61], v[72:73], -v[76:77]
	v_add_f64 v[144:145], v[74:75], -v[86:87]
	v_fma_f64 v[58:59], v[58:59], s[18:19], v[62:63]
	v_add_f64 v[62:63], v[84:85], -v[80:81]
	s_delay_alu instid0(VALU_DEP_1) | instskip(SKIP_2) | instid1(VALU_DEP_1)
	v_add_f64 v[64:65], v[60:61], v[62:63]
	v_add_f64 v[60:61], v[74:75], -v[78:79]
	v_add_f64 v[62:63], v[86:87], -v[82:83]
	v_add_f64 v[66:67], v[60:61], v[62:63]
	v_add_f64 v[60:61], v[76:77], v[80:81]
	s_waitcnt lgkmcnt(0)
	s_delay_alu instid0(VALU_DEP_1) | instskip(SKIP_1) | instid1(VALU_DEP_1)
	v_fma_f64 v[96:97], v[60:61], -0.5, v[68:69]
	v_add_f64 v[60:61], v[78:79], v[82:83]
	v_fma_f64 v[98:99], v[60:61], -0.5, v[70:71]
	s_delay_alu instid0(VALU_DEP_3) | instskip(SKIP_1) | instid1(VALU_DEP_3)
	v_fma_f64 v[60:61], v[144:145], s[8:9], v[96:97]
	v_fma_f64 v[96:97], v[144:145], s[12:13], v[96:97]
	;; [unrolled: 1-line block ×4, first 2 shown]
	s_delay_alu instid0(VALU_DEP_4) | instskip(NEXT) | instid1(VALU_DEP_4)
	v_fma_f64 v[60:61], v[146:147], s[14:15], v[60:61]
	v_fma_f64 v[96:97], v[146:147], s[16:17], v[96:97]
	s_delay_alu instid0(VALU_DEP_4) | instskip(NEXT) | instid1(VALU_DEP_4)
	v_fma_f64 v[62:63], v[150:151], s[16:17], v[62:63]
	v_fma_f64 v[98:99], v[150:151], s[14:15], v[98:99]
	;; [unrolled: 3-line block ×3, first 2 shown]
	v_add_f64 v[96:97], v[72:73], v[84:85]
	v_fma_f64 v[62:63], v[66:67], s[18:19], v[62:63]
	v_fma_f64 v[66:67], v[66:67], s[18:19], v[98:99]
	v_add_f64 v[98:99], v[74:75], v[86:87]
	s_delay_alu instid0(VALU_DEP_4) | instskip(SKIP_2) | instid1(VALU_DEP_4)
	v_fma_f64 v[96:97], v[96:97], -0.5, v[68:69]
	v_add_f64 v[68:69], v[68:69], v[72:73]
	v_add_f64 v[72:73], v[76:77], -v[72:73]
	v_fma_f64 v[98:99], v[98:99], -0.5, v[70:71]
	v_add_f64 v[70:71], v[70:71], v[74:75]
	v_add_f64 v[74:75], v[78:79], -v[74:75]
	v_add_f64 v[68:69], v[68:69], v[76:77]
	v_add_f64 v[76:77], v[80:81], -v[84:85]
	s_delay_alu instid0(VALU_DEP_4) | instskip(SKIP_1) | instid1(VALU_DEP_4)
	v_add_f64 v[70:71], v[70:71], v[78:79]
	v_add_f64 v[78:79], v[82:83], -v[86:87]
	v_add_f64 v[68:69], v[68:69], v[80:81]
	v_fma_f64 v[80:81], v[146:147], s[12:13], v[96:97]
	v_add_f64 v[76:77], v[72:73], v[76:77]
	v_add_f64 v[70:71], v[70:71], v[82:83]
	v_fma_f64 v[82:83], v[146:147], s[8:9], v[96:97]
	v_add_f64 v[68:69], v[68:69], v[84:85]
	v_fma_f64 v[84:85], v[150:151], s[8:9], v[98:99]
	;; [unrolled: 2-line block ×4, first 2 shown]
	v_fma_f64 v[80:81], v[144:145], s[16:17], v[82:83]
	v_fma_f64 v[74:75], v[148:149], s[16:17], v[84:85]
	ds_load_b128 v[96:99], v168 offset:3120
	v_fma_f64 v[72:73], v[76:77], s[18:19], v[72:73]
	v_add_f64 v[150:151], v[92:93], -v[138:139]
	v_fma_f64 v[82:83], v[148:149], s[14:15], v[86:87]
	v_fma_f64 v[76:77], v[76:77], s[18:19], v[80:81]
	;; [unrolled: 1-line block ×3, first 2 shown]
	v_add_f64 v[80:81], v[90:91], -v[94:95]
	v_add_f64 v[148:149], v[88:89], -v[142:143]
	v_fma_f64 v[78:79], v[78:79], s[18:19], v[82:83]
	v_add_f64 v[82:83], v[140:141], -v[136:137]
	s_delay_alu instid0(VALU_DEP_1) | instskip(SKIP_2) | instid1(VALU_DEP_1)
	v_add_f64 v[84:85], v[80:81], v[82:83]
	v_add_f64 v[80:81], v[88:89], -v[92:93]
	v_add_f64 v[82:83], v[142:143], -v[138:139]
	v_add_f64 v[86:87], v[80:81], v[82:83]
	v_add_f64 v[80:81], v[94:95], v[136:137]
	s_waitcnt lgkmcnt(0)
	s_delay_alu instid0(VALU_DEP_1) | instskip(SKIP_1) | instid1(VALU_DEP_1)
	v_fma_f64 v[144:145], v[80:81], -0.5, v[96:97]
	v_add_f64 v[80:81], v[92:93], v[138:139]
	v_fma_f64 v[146:147], v[80:81], -0.5, v[98:99]
	s_delay_alu instid0(VALU_DEP_3) | instskip(SKIP_1) | instid1(VALU_DEP_3)
	v_fma_f64 v[80:81], v[148:149], s[8:9], v[144:145]
	v_fma_f64 v[144:145], v[148:149], s[12:13], v[144:145]
	v_fma_f64 v[82:83], v[152:153], s[12:13], v[146:147]
	s_delay_alu instid0(VALU_DEP_3) | instskip(SKIP_1) | instid1(VALU_DEP_4)
	v_fma_f64 v[80:81], v[150:151], s[14:15], v[80:81]
	v_fma_f64 v[146:147], v[152:153], s[8:9], v[146:147]
	;; [unrolled: 1-line block ×3, first 2 shown]
	s_delay_alu instid0(VALU_DEP_4) | instskip(NEXT) | instid1(VALU_DEP_4)
	v_fma_f64 v[82:83], v[154:155], s[16:17], v[82:83]
	v_fma_f64 v[80:81], v[84:85], s[18:19], v[80:81]
	s_delay_alu instid0(VALU_DEP_4) | instskip(NEXT) | instid1(VALU_DEP_4)
	v_fma_f64 v[146:147], v[154:155], s[14:15], v[146:147]
	v_fma_f64 v[84:85], v[84:85], s[18:19], v[144:145]
	v_add_f64 v[144:145], v[90:91], v[140:141]
	v_fma_f64 v[82:83], v[86:87], s[18:19], v[82:83]
	s_delay_alu instid0(VALU_DEP_4) | instskip(SKIP_1) | instid1(VALU_DEP_4)
	v_fma_f64 v[86:87], v[86:87], s[18:19], v[146:147]
	v_add_f64 v[146:147], v[88:89], v[142:143]
	v_fma_f64 v[144:145], v[144:145], -0.5, v[96:97]
	v_add_f64 v[96:97], v[96:97], v[90:91]
	s_delay_alu instid0(VALU_DEP_3) | instskip(SKIP_1) | instid1(VALU_DEP_3)
	v_fma_f64 v[146:147], v[146:147], -0.5, v[98:99]
	v_add_f64 v[98:99], v[98:99], v[88:89]
	v_add_f64 v[90:91], v[96:97], v[94:95]
	v_add_f64 v[96:97], v[138:139], -v[142:143]
	s_delay_alu instid0(VALU_DEP_3) | instskip(SKIP_1) | instid1(VALU_DEP_4)
	v_add_f64 v[94:95], v[98:99], v[92:93]
	v_add_f64 v[92:93], v[92:93], -v[88:89]
	v_add_f64 v[88:89], v[90:91], v[136:137]
	v_fma_f64 v[98:99], v[150:151], s[12:13], v[144:145]
	s_delay_alu instid0(VALU_DEP_4) | instskip(SKIP_1) | instid1(VALU_DEP_4)
	v_add_f64 v[90:91], v[94:95], v[138:139]
	v_add_f64 v[94:95], v[136:137], -v[140:141]
	v_add_f64 v[88:89], v[88:89], v[140:141]
	v_fma_f64 v[136:137], v[150:151], s[8:9], v[144:145]
	v_fma_f64 v[138:139], v[154:155], s[8:9], v[146:147]
	;; [unrolled: 1-line block ×3, first 2 shown]
	v_add_f64 v[144:145], v[92:93], v[96:97]
	v_fma_f64 v[92:93], v[148:149], s[14:15], v[98:99]
	v_add_f64 v[154:155], v[104:105], -v[108:109]
	v_add_f64 v[90:91], v[90:91], v[142:143]
	v_add_f64 v[142:143], v[156:157], v[94:95]
	v_add_f64 v[156:157], v[102:103], -v[112:113]
	v_fma_f64 v[96:97], v[148:149], s[16:17], v[136:137]
	v_fma_f64 v[94:95], v[152:153], s[16:17], v[138:139]
	;; [unrolled: 1-line block ×3, first 2 shown]
	v_add_f64 v[136:137], v[102:103], -v[106:107]
	v_add_f64 v[138:139], v[112:113], -v[110:111]
	v_add_f64 v[140:141], v[106:107], v[110:111]
	v_add_f64 v[152:153], v[100:101], -v[114:115]
	v_fma_f64 v[92:93], v[142:143], s[18:19], v[92:93]
	v_fma_f64 v[96:97], v[142:143], s[18:19], v[96:97]
	;; [unrolled: 1-line block ×4, first 2 shown]
	v_add_f64 v[144:145], v[136:137], v[138:139]
	v_add_f64 v[136:137], v[100:101], -v[104:105]
	v_add_f64 v[138:139], v[114:115], -v[108:109]
	s_delay_alu instid0(VALU_DEP_1)
	v_add_f64 v[146:147], v[136:137], v[138:139]
	ds_load_b128 v[136:139], v168 offset:4160
	s_waitcnt lgkmcnt(0)
	s_barrier
	buffer_gl0_inv
	ds_store_b128 v168, v[132:135]
	ds_store_b128 v168, v[48:51] offset:5200
	ds_store_b128 v168, v[24:27] offset:1040
	ds_store_b128 v168, v[32:35] offset:2080
	ds_store_b128 v168, v[36:39] offset:3120
	ds_store_b128 v168, v[28:31] offset:4160
	ds_store_b128 v168, v[40:43] offset:6240
	ds_store_b128 v168, v[52:55] offset:7280
	ds_store_b128 v168, v[56:59] offset:8320
	ds_store_b128 v168, v[44:47] offset:9360
	v_lshl_add_u32 v24, v120, 4, v163
	ds_store_b128 v24, v[68:71] offset:10400
	ds_store_b128 v24, v[60:63] offset:11440
	;; [unrolled: 1-line block ×4, first 2 shown]
	scratch_store_b32 off, v24, off offset:916 ; 4-byte Folded Spill
	ds_store_b128 v24, v[64:67] offset:14560
	v_and_b32_e32 v24, 0xffff, v121
	v_add_co_u32 v32, s0, s2, v119
	s_delay_alu instid0(VALU_DEP_1) | instskip(NEXT) | instid1(VALU_DEP_3)
	v_add_co_ci_u32_e64 v33, null, s3, 0, s0
	v_lshl_add_u32 v24, v24, 4, v163
	ds_store_b128 v24, v[88:91] offset:15600
	ds_store_b128 v24, v[80:83] offset:16640
	;; [unrolled: 1-line block ×4, first 2 shown]
	v_fma_f64 v[148:149], v[140:141], -0.5, v[136:137]
	v_add_f64 v[140:141], v[104:105], v[108:109]
	scratch_store_b32 off, v24, off offset:912 ; 4-byte Folded Spill
	ds_store_b128 v24, v[84:87] offset:19760
	v_and_b32_e32 v24, 0xffff, v122
	s_delay_alu instid0(VALU_DEP_1) | instskip(SKIP_3) | instid1(VALU_DEP_3)
	v_lshl_add_u32 v24, v24, 4, v163
	v_fma_f64 v[150:151], v[140:141], -0.5, v[138:139]
	v_fma_f64 v[140:141], v[152:153], s[8:9], v[148:149]
	v_fma_f64 v[148:149], v[152:153], s[12:13], v[148:149]
	;; [unrolled: 1-line block ×4, first 2 shown]
	s_delay_alu instid0(VALU_DEP_4) | instskip(NEXT) | instid1(VALU_DEP_4)
	v_fma_f64 v[140:141], v[154:155], s[14:15], v[140:141]
	v_fma_f64 v[148:149], v[154:155], s[16:17], v[148:149]
	s_delay_alu instid0(VALU_DEP_4) | instskip(NEXT) | instid1(VALU_DEP_4)
	v_fma_f64 v[142:143], v[158:159], s[16:17], v[142:143]
	v_fma_f64 v[150:151], v[158:159], s[14:15], v[150:151]
	;; [unrolled: 3-line block ×3, first 2 shown]
	v_add_f64 v[148:149], v[102:103], v[112:113]
	v_fma_f64 v[142:143], v[146:147], s[18:19], v[142:143]
	v_fma_f64 v[146:147], v[146:147], s[18:19], v[150:151]
	v_add_f64 v[150:151], v[100:101], v[114:115]
	s_delay_alu instid0(VALU_DEP_4) | instskip(SKIP_1) | instid1(VALU_DEP_3)
	v_fma_f64 v[148:149], v[148:149], -0.5, v[136:137]
	v_add_f64 v[136:137], v[136:137], v[102:103]
	v_fma_f64 v[150:151], v[150:151], -0.5, v[138:139]
	v_add_f64 v[138:139], v[138:139], v[100:101]
	s_delay_alu instid0(VALU_DEP_3) | instskip(NEXT) | instid1(VALU_DEP_3)
	v_add_f64 v[102:103], v[136:137], v[106:107]
	v_fma_f64 v[136:137], v[158:159], s[12:13], v[150:151]
	s_delay_alu instid0(VALU_DEP_3) | instskip(SKIP_1) | instid1(VALU_DEP_4)
	v_add_f64 v[106:107], v[138:139], v[104:105]
	v_add_f64 v[104:105], v[104:105], -v[100:101]
	v_add_f64 v[100:101], v[102:103], v[110:111]
	s_delay_alu instid0(VALU_DEP_3)
	v_add_f64 v[102:103], v[106:107], v[108:109]
	v_add_f64 v[106:107], v[110:111], -v[112:113]
	v_add_f64 v[108:109], v[108:109], -v[114:115]
	v_fma_f64 v[110:111], v[154:155], s[12:13], v[148:149]
	v_add_f64 v[100:101], v[100:101], v[112:113]
	v_fma_f64 v[112:113], v[154:155], s[8:9], v[148:149]
	v_add_f64 v[102:103], v[102:103], v[114:115]
	;; [unrolled: 2-line block ×3, first 2 shown]
	v_add_f64 v[148:149], v[104:105], v[108:109]
	v_fma_f64 v[104:105], v[152:153], s[14:15], v[110:111]
	v_fma_f64 v[108:109], v[152:153], s[16:17], v[112:113]
	;; [unrolled: 1-line block ×4, first 2 shown]
	s_delay_alu instid0(VALU_DEP_4) | instskip(NEXT) | instid1(VALU_DEP_4)
	v_fma_f64 v[104:105], v[138:139], s[18:19], v[104:105]
	v_fma_f64 v[108:109], v[138:139], s[18:19], v[108:109]
	s_delay_alu instid0(VALU_DEP_4) | instskip(NEXT) | instid1(VALU_DEP_4)
	v_fma_f64 v[110:111], v[148:149], s[18:19], v[110:111]
	v_fma_f64 v[106:107], v[148:149], s[18:19], v[106:107]
	ds_store_b128 v24, v[100:103] offset:20800
	ds_store_b128 v24, v[140:143] offset:21840
	;; [unrolled: 1-line block ×4, first 2 shown]
	scratch_store_b32 off, v24, off offset:904 ; 4-byte Folded Spill
	ds_store_b128 v24, v[144:147] offset:24960
	v_add_co_u32 v24, s0, 0x1000, v32
	s_delay_alu instid0(VALU_DEP_1)
	v_add_co_ci_u32_e64 v25, s0, 0, v33, s0
	s_waitcnt lgkmcnt(0)
	s_waitcnt_vscnt null, 0x0
	s_barrier
	buffer_gl0_inv
	global_load_b128 v[34:37], v[24:25], off offset:896
	v_add_co_u32 v32, s0, 0x1380, v32
	s_delay_alu instid0(VALU_DEP_1)
	v_add_co_ci_u32_e64 v33, s0, 0, v33, s0
	global_load_b128 v[38:41], v[32:33], off offset:16
	ds_load_b128 v[24:27], v168 offset:5200
	global_load_b128 v[216:219], v[32:33], off offset:32
	s_waitcnt vmcnt(2) lgkmcnt(0)
	v_mul_f64 v[28:29], v[26:27], v[36:37]
	scratch_store_b128 off, v[34:37], off offset:644 ; 16-byte Folded Spill
	s_waitcnt vmcnt(1)
	scratch_store_b128 off, v[38:41], off offset:884 ; 16-byte Folded Spill
	v_fma_f64 v[28:29], v[24:25], v[34:35], -v[28:29]
	v_mul_f64 v[24:25], v[24:25], v[36:37]
	s_delay_alu instid0(VALU_DEP_1) | instskip(SKIP_3) | instid1(VALU_DEP_1)
	v_fma_f64 v[30:31], v[26:27], v[34:35], v[24:25]
	ds_load_b128 v[24:27], v168 offset:10400
	s_waitcnt lgkmcnt(0)
	v_mul_f64 v[34:35], v[26:27], v[40:41]
	v_fma_f64 v[36:37], v[24:25], v[38:39], -v[34:35]
	v_mul_f64 v[24:25], v[24:25], v[40:41]
	global_load_b128 v[40:43], v[32:33], off offset:48
	v_fma_f64 v[38:39], v[26:27], v[38:39], v[24:25]
	ds_load_b128 v[24:27], v168 offset:15600
	s_waitcnt vmcnt(1) lgkmcnt(0)
	v_mul_f64 v[34:35], v[26:27], v[218:219]
	s_delay_alu instid0(VALU_DEP_1) | instskip(SKIP_1) | instid1(VALU_DEP_2)
	v_fma_f64 v[56:57], v[24:25], v[216:217], -v[34:35]
	v_mul_f64 v[24:25], v[24:25], v[218:219]
	v_add_f64 v[90:91], v[36:37], -v[56:57]
	s_delay_alu instid0(VALU_DEP_2)
	v_fma_f64 v[58:59], v[26:27], v[216:217], v[24:25]
	ds_load_b128 v[24:27], v168 offset:20800
	v_add_f64 v[86:87], v[38:39], -v[58:59]
	s_waitcnt vmcnt(0) lgkmcnt(0)
	v_mul_f64 v[32:33], v[26:27], v[42:43]
	scratch_store_b128 off, v[40:43], off offset:868 ; 16-byte Folded Spill
	v_fma_f64 v[60:61], v[24:25], v[40:41], -v[32:33]
	v_mul_f64 v[24:25], v[24:25], v[42:43]
	s_delay_alu instid0(VALU_DEP_2) | instskip(NEXT) | instid1(VALU_DEP_2)
	v_add_f64 v[88:89], v[28:29], -v[60:61]
	v_fma_f64 v[62:63], v[26:27], v[40:41], v[24:25]
	v_lshlrev_b32_e32 v24, 6, v126
	s_delay_alu instid0(VALU_DEP_1) | instskip(NEXT) | instid1(VALU_DEP_1)
	v_add_co_u32 v34, s0, s2, v24
	v_add_co_ci_u32_e64 v35, null, s3, 0, s0
	s_delay_alu instid0(VALU_DEP_2) | instskip(NEXT) | instid1(VALU_DEP_1)
	v_add_co_u32 v24, s0, 0x1000, v34
	v_add_co_ci_u32_e64 v25, s0, 0, v35, s0
	global_load_b128 v[40:43], v[24:25], off offset:896
	ds_load_b128 v[24:27], v168 offset:6240
	v_add_f64 v[84:85], v[30:31], -v[62:63]
	s_waitcnt vmcnt(0) lgkmcnt(0)
	v_mul_f64 v[32:33], v[26:27], v[42:43]
	scratch_store_b128 off, v[40:43], off offset:708 ; 16-byte Folded Spill
	v_fma_f64 v[104:105], v[24:25], v[40:41], -v[32:33]
	v_mul_f64 v[24:25], v[24:25], v[42:43]
	v_add_co_u32 v32, s0, 0x1380, v34
	s_delay_alu instid0(VALU_DEP_1) | instskip(NEXT) | instid1(VALU_DEP_3)
	v_add_co_ci_u32_e64 v33, s0, 0, v35, s0
	v_fma_f64 v[106:107], v[26:27], v[40:41], v[24:25]
	global_load_b128 v[40:43], v[32:33], off offset:16
	ds_load_b128 v[24:27], v168 offset:11440
	s_waitcnt vmcnt(0) lgkmcnt(0)
	v_mul_f64 v[34:35], v[26:27], v[42:43]
	scratch_store_b128 off, v[40:43], off offset:740 ; 16-byte Folded Spill
	v_fma_f64 v[108:109], v[24:25], v[40:41], -v[34:35]
	v_mul_f64 v[24:25], v[24:25], v[42:43]
	s_delay_alu instid0(VALU_DEP_1)
	v_fma_f64 v[110:111], v[26:27], v[40:41], v[24:25]
	global_load_b128 v[40:43], v[32:33], off offset:32
	ds_load_b128 v[24:27], v168 offset:16640
	s_waitcnt vmcnt(0) lgkmcnt(0)
	v_mul_f64 v[34:35], v[26:27], v[42:43]
	scratch_store_b128 off, v[40:43], off offset:724 ; 16-byte Folded Spill
	v_fma_f64 v[112:113], v[24:25], v[40:41], -v[34:35]
	v_mul_f64 v[24:25], v[24:25], v[42:43]
	s_delay_alu instid0(VALU_DEP_1)
	v_fma_f64 v[114:115], v[26:27], v[40:41], v[24:25]
	global_load_b128 v[40:43], v[32:33], off offset:48
	ds_load_b128 v[24:27], v168 offset:21840
	s_waitcnt vmcnt(0) lgkmcnt(0)
	v_mul_f64 v[32:33], v[26:27], v[42:43]
	scratch_store_b128 off, v[40:43], off offset:692 ; 16-byte Folded Spill
	v_fma_f64 v[119:120], v[24:25], v[40:41], -v[32:33]
	v_mul_f64 v[24:25], v[24:25], v[42:43]
	s_delay_alu instid0(VALU_DEP_1) | instskip(SKIP_1) | instid1(VALU_DEP_1)
	v_fma_f64 v[121:122], v[26:27], v[40:41], v[24:25]
	v_lshlrev_b32_e32 v24, 6, v116
	v_add_co_u32 v34, s0, s2, v24
	s_delay_alu instid0(VALU_DEP_1) | instskip(NEXT) | instid1(VALU_DEP_2)
	v_add_co_ci_u32_e64 v35, null, s3, 0, s0
	v_add_co_u32 v24, s0, 0x1000, v34
	s_delay_alu instid0(VALU_DEP_1)
	v_add_co_ci_u32_e64 v25, s0, 0, v35, s0
	global_load_b128 v[40:43], v[24:25], off offset:896
	ds_load_b128 v[24:27], v168 offset:7280
	s_waitcnt vmcnt(0) lgkmcnt(0)
	v_mul_f64 v[32:33], v[26:27], v[42:43]
	scratch_store_b128 off, v[40:43], off offset:756 ; 16-byte Folded Spill
	v_fma_f64 v[126:127], v[24:25], v[40:41], -v[32:33]
	v_mul_f64 v[24:25], v[24:25], v[42:43]
	v_add_co_u32 v32, s0, 0x1380, v34
	s_delay_alu instid0(VALU_DEP_1) | instskip(NEXT) | instid1(VALU_DEP_3)
	v_add_co_ci_u32_e64 v33, s0, 0, v35, s0
	v_fma_f64 v[132:133], v[26:27], v[40:41], v[24:25]
	global_load_b128 v[40:43], v[32:33], off offset:16
	ds_load_b128 v[24:27], v168 offset:12480
	s_waitcnt vmcnt(0) lgkmcnt(0)
	v_mul_f64 v[34:35], v[26:27], v[42:43]
	scratch_store_b128 off, v[40:43], off offset:852 ; 16-byte Folded Spill
	v_fma_f64 v[134:135], v[24:25], v[40:41], -v[34:35]
	v_mul_f64 v[24:25], v[24:25], v[42:43]
	s_delay_alu instid0(VALU_DEP_1)
	v_fma_f64 v[136:137], v[26:27], v[40:41], v[24:25]
	global_load_b128 v[40:43], v[32:33], off offset:32
	ds_load_b128 v[24:27], v168 offset:17680
	s_waitcnt vmcnt(0) lgkmcnt(0)
	v_mul_f64 v[34:35], v[26:27], v[42:43]
	scratch_store_b128 off, v[40:43], off offset:804 ; 16-byte Folded Spill
	v_fma_f64 v[138:139], v[24:25], v[40:41], -v[34:35]
	v_mul_f64 v[24:25], v[24:25], v[42:43]
	s_delay_alu instid0(VALU_DEP_2) | instskip(NEXT) | instid1(VALU_DEP_2)
	v_add_f64 v[146:147], v[134:135], -v[138:139]
	v_fma_f64 v[140:141], v[26:27], v[40:41], v[24:25]
	global_load_b128 v[40:43], v[32:33], off offset:48
	ds_load_b128 v[24:27], v168 offset:22880
	s_waitcnt vmcnt(0) lgkmcnt(0)
	v_mul_f64 v[32:33], v[26:27], v[42:43]
	scratch_store_b128 off, v[40:43], off offset:820 ; 16-byte Folded Spill
	v_fma_f64 v[142:143], v[24:25], v[40:41], -v[32:33]
	v_mul_f64 v[24:25], v[24:25], v[42:43]
	s_delay_alu instid0(VALU_DEP_1) | instskip(SKIP_1) | instid1(VALU_DEP_1)
	v_fma_f64 v[144:145], v[26:27], v[40:41], v[24:25]
	v_lshlrev_b32_e32 v24, 6, v118
	v_add_co_u32 v40, s0, s2, v24
	s_delay_alu instid0(VALU_DEP_1) | instskip(NEXT) | instid1(VALU_DEP_2)
	v_add_co_ci_u32_e64 v41, null, s3, 0, s0
	v_add_co_u32 v24, s0, 0x1000, v40
	s_delay_alu instid0(VALU_DEP_1)
	v_add_co_ci_u32_e64 v25, s0, 0, v41, s0
	global_load_b128 v[42:45], v[24:25], off offset:896
	ds_load_b128 v[24:27], v168 offset:8320
	s_waitcnt vmcnt(0) lgkmcnt(0)
	v_mul_f64 v[32:33], v[26:27], v[44:45]
	scratch_store_b128 off, v[42:45], off offset:836 ; 16-byte Folded Spill
	v_fma_f64 v[34:35], v[24:25], v[42:43], -v[32:33]
	v_mul_f64 v[24:25], v[24:25], v[44:45]
	v_add_co_u32 v44, s0, 0x1380, v40
	s_delay_alu instid0(VALU_DEP_1)
	v_add_co_ci_u32_e64 v45, s0, 0, v41, s0
	s_clause 0x1
	global_load_b128 v[50:53], v[44:45], off offset:16
	global_load_b128 v[64:67], v[44:45], off offset:48
	v_fma_f64 v[32:33], v[26:27], v[42:43], v[24:25]
	ds_load_b128 v[24:27], v168 offset:13520
	s_waitcnt vmcnt(1) lgkmcnt(0)
	v_mul_f64 v[40:41], v[26:27], v[52:53]
	scratch_store_b128 off, v[50:53], off offset:772 ; 16-byte Folded Spill
	s_waitcnt vmcnt(0)
	scratch_store_b128 off, v[64:67], off offset:612 ; 16-byte Folded Spill
	v_fma_f64 v[48:49], v[24:25], v[50:51], -v[40:41]
	v_mul_f64 v[24:25], v[24:25], v[52:53]
	global_load_b128 v[52:55], v[44:45], off offset:32
	v_fma_f64 v[40:41], v[26:27], v[50:51], v[24:25]
	ds_load_b128 v[24:27], v168 offset:18720
	s_waitcnt vmcnt(0) lgkmcnt(0)
	v_mul_f64 v[42:43], v[26:27], v[54:55]
	scratch_store_b128 off, v[52:55], off offset:788 ; 16-byte Folded Spill
	v_fma_f64 v[50:51], v[24:25], v[52:53], -v[42:43]
	v_mul_f64 v[24:25], v[24:25], v[54:55]
	s_delay_alu instid0(VALU_DEP_1) | instskip(SKIP_3) | instid1(VALU_DEP_1)
	v_fma_f64 v[42:43], v[26:27], v[52:53], v[24:25]
	ds_load_b128 v[24:27], v168 offset:23920
	s_waitcnt lgkmcnt(0)
	v_mul_f64 v[44:45], v[26:27], v[66:67]
	v_fma_f64 v[52:53], v[24:25], v[64:65], -v[44:45]
	v_mul_f64 v[24:25], v[24:25], v[66:67]
	s_delay_alu instid0(VALU_DEP_1) | instskip(SKIP_2) | instid1(VALU_DEP_2)
	v_fma_f64 v[54:55], v[26:27], v[64:65], v[24:25]
	v_lshlrev_b32_e32 v24, 6, v117
	v_add_f64 v[116:117], v[108:109], -v[112:113]
	v_add_co_u32 v64, s0, s2, v24
	s_delay_alu instid0(VALU_DEP_1) | instskip(NEXT) | instid1(VALU_DEP_2)
	v_add_co_ci_u32_e64 v65, null, s3, 0, s0
	v_add_co_u32 v24, s0, 0x1000, v64
	s_delay_alu instid0(VALU_DEP_1) | instskip(SKIP_1) | instid1(VALU_DEP_1)
	v_add_co_ci_u32_e64 v25, s0, 0, v65, s0
	v_add_co_u32 v70, s0, 0x1380, v64
	v_add_co_ci_u32_e64 v71, s0, 0, v65, s0
	s_clause 0x1
	global_load_b128 v[66:69], v[24:25], off offset:896
	global_load_b128 v[72:75], v[70:71], off offset:32
	ds_load_b128 v[24:27], v168 offset:9360
	s_waitcnt vmcnt(1) lgkmcnt(0)
	v_mul_f64 v[44:45], v[26:27], v[68:69]
	scratch_store_b128 off, v[66:69], off offset:468 ; 16-byte Folded Spill
	s_waitcnt vmcnt(0)
	scratch_store_b128 off, v[72:75], off offset:580 ; 16-byte Folded Spill
	v_fma_f64 v[46:47], v[24:25], v[66:67], -v[44:45]
	v_mul_f64 v[24:25], v[24:25], v[68:69]
	s_delay_alu instid0(VALU_DEP_1)
	v_fma_f64 v[44:45], v[26:27], v[66:67], v[24:25]
	global_load_b128 v[66:69], v[70:71], off offset:16
	ds_load_b128 v[24:27], v168 offset:14560
	s_waitcnt vmcnt(0) lgkmcnt(0)
	v_mul_f64 v[64:65], v[26:27], v[68:69]
	scratch_store_b128 off, v[66:69], off offset:628 ; 16-byte Folded Spill
	v_fma_f64 v[64:65], v[24:25], v[66:67], -v[64:65]
	v_mul_f64 v[24:25], v[24:25], v[68:69]
	s_delay_alu instid0(VALU_DEP_1) | instskip(SKIP_3) | instid1(VALU_DEP_1)
	v_fma_f64 v[66:67], v[26:27], v[66:67], v[24:25]
	ds_load_b128 v[24:27], v168 offset:19760
	s_waitcnt lgkmcnt(0)
	v_mul_f64 v[68:69], v[26:27], v[74:75]
	v_fma_f64 v[68:69], v[24:25], v[72:73], -v[68:69]
	v_mul_f64 v[24:25], v[24:25], v[74:75]
	s_delay_alu instid0(VALU_DEP_1)
	v_fma_f64 v[92:93], v[26:27], v[72:73], v[24:25]
	global_load_b128 v[72:75], v[70:71], off offset:48
	ds_load_b128 v[24:27], v168 offset:24960
	s_waitcnt vmcnt(0) lgkmcnt(0)
	v_mul_f64 v[70:71], v[26:27], v[74:75]
	scratch_store_b128 off, v[72:75], off offset:596 ; 16-byte Folded Spill
	v_fma_f64 v[70:71], v[24:25], v[72:73], -v[70:71]
	v_mul_f64 v[24:25], v[24:25], v[74:75]
	s_delay_alu instid0(VALU_DEP_2) | instskip(NEXT) | instid1(VALU_DEP_2)
	v_add_f64 v[148:149], v[46:47], -v[70:71]
	v_fma_f64 v[94:95], v[26:27], v[72:73], v[24:25]
	v_add_f64 v[24:25], v[28:29], -v[36:37]
	v_add_f64 v[26:27], v[60:61], -v[56:57]
	v_add_f64 v[72:73], v[36:37], v[56:57]
	s_delay_alu instid0(VALU_DEP_2) | instskip(SKIP_2) | instid1(VALU_DEP_1)
	v_add_f64 v[76:77], v[24:25], v[26:27]
	v_add_f64 v[24:25], v[30:31], -v[38:39]
	v_add_f64 v[26:27], v[62:63], -v[58:59]
	v_add_f64 v[78:79], v[24:25], v[26:27]
	ds_load_b128 v[24:27], v168
	s_waitcnt lgkmcnt(0)
	v_fma_f64 v[80:81], v[72:73], -0.5, v[24:25]
	v_add_f64 v[72:73], v[38:39], v[58:59]
	s_delay_alu instid0(VALU_DEP_1) | instskip(NEXT) | instid1(VALU_DEP_3)
	v_fma_f64 v[82:83], v[72:73], -0.5, v[26:27]
	v_fma_f64 v[72:73], v[84:85], s[8:9], v[80:81]
	v_fma_f64 v[80:81], v[84:85], s[12:13], v[80:81]
	s_delay_alu instid0(VALU_DEP_3) | instskip(NEXT) | instid1(VALU_DEP_3)
	v_fma_f64 v[74:75], v[88:89], s[12:13], v[82:83]
	v_fma_f64 v[72:73], v[86:87], s[14:15], v[72:73]
	s_delay_alu instid0(VALU_DEP_3) | instskip(SKIP_1) | instid1(VALU_DEP_4)
	v_fma_f64 v[80:81], v[86:87], s[16:17], v[80:81]
	v_fma_f64 v[82:83], v[88:89], s[8:9], v[82:83]
	;; [unrolled: 1-line block ×3, first 2 shown]
	s_delay_alu instid0(VALU_DEP_4) | instskip(NEXT) | instid1(VALU_DEP_4)
	v_fma_f64 v[72:73], v[76:77], s[18:19], v[72:73]
	v_fma_f64 v[76:77], v[76:77], s[18:19], v[80:81]
	v_add_f64 v[80:81], v[28:29], v[60:61]
	v_fma_f64 v[82:83], v[90:91], s[14:15], v[82:83]
	v_fma_f64 v[74:75], v[78:79], s[18:19], v[74:75]
	s_delay_alu instid0(VALU_DEP_3) | instskip(SKIP_4) | instid1(VALU_DEP_4)
	v_fma_f64 v[96:97], v[80:81], -0.5, v[24:25]
	v_add_f64 v[80:81], v[30:31], v[62:63]
	v_add_f64 v[24:25], v[24:25], v[28:29]
	v_fma_f64 v[78:79], v[78:79], s[18:19], v[82:83]
	v_add_f64 v[28:29], v[36:37], -v[28:29]
	v_fma_f64 v[98:99], v[80:81], -0.5, v[26:27]
	v_add_f64 v[26:27], v[26:27], v[30:31]
	v_add_f64 v[24:25], v[24:25], v[36:37]
	v_add_f64 v[30:31], v[38:39], -v[30:31]
	v_add_f64 v[36:37], v[56:57], -v[60:61]
	s_delay_alu instid0(VALU_DEP_4) | instskip(NEXT) | instid1(VALU_DEP_4)
	v_add_f64 v[26:27], v[26:27], v[38:39]
	v_add_f64 v[24:25], v[24:25], v[56:57]
	v_fma_f64 v[38:39], v[86:87], s[8:9], v[96:97]
	v_fma_f64 v[56:57], v[90:91], s[8:9], v[98:99]
	v_add_f64 v[28:29], v[28:29], v[36:37]
	v_add_f64 v[26:27], v[26:27], v[58:59]
	;; [unrolled: 1-line block ×3, first 2 shown]
	v_add_f64 v[24:25], v[58:59], -v[62:63]
	v_fma_f64 v[58:59], v[90:91], s[12:13], v[98:99]
	v_fma_f64 v[36:37], v[88:89], s[16:17], v[56:57]
	v_add_f64 v[56:57], v[106:107], -v[121:122]
	v_add_f64 v[82:83], v[26:27], v[62:63]
	v_fma_f64 v[26:27], v[86:87], s[12:13], v[96:97]
	v_add_f64 v[24:25], v[30:31], v[24:25]
	v_fma_f64 v[30:31], v[84:85], s[16:17], v[38:39]
	v_fma_f64 v[38:39], v[88:89], s[14:15], v[58:59]
	v_add_f64 v[62:63], v[104:105], -v[119:120]
	v_add_f64 v[58:59], v[110:111], -v[114:115]
	v_fma_f64 v[26:27], v[84:85], s[14:15], v[26:27]
	v_fma_f64 v[90:91], v[24:25], s[18:19], v[36:37]
	;; [unrolled: 1-line block ×4, first 2 shown]
	v_add_f64 v[24:25], v[104:105], -v[108:109]
	v_add_f64 v[36:37], v[108:109], v[112:113]
	v_add_f64 v[38:39], v[110:111], v[114:115]
	v_fma_f64 v[88:89], v[28:29], s[18:19], v[26:27]
	v_add_f64 v[26:27], v[119:120], -v[112:113]
	s_delay_alu instid0(VALU_DEP_1) | instskip(SKIP_2) | instid1(VALU_DEP_1)
	v_add_f64 v[28:29], v[24:25], v[26:27]
	v_add_f64 v[24:25], v[106:107], -v[110:111]
	v_add_f64 v[26:27], v[121:122], -v[114:115]
	v_add_f64 v[30:31], v[24:25], v[26:27]
	ds_load_b128 v[24:27], v168 offset:1040
	s_waitcnt lgkmcnt(0)
	v_fma_f64 v[36:37], v[36:37], -0.5, v[24:25]
	v_fma_f64 v[38:39], v[38:39], -0.5, v[26:27]
	s_delay_alu instid0(VALU_DEP_2) | instskip(NEXT) | instid1(VALU_DEP_2)
	v_fma_f64 v[60:61], v[56:57], s[8:9], v[36:37]
	v_fma_f64 v[96:97], v[62:63], s[12:13], v[38:39]
	;; [unrolled: 1-line block ×4, first 2 shown]
	s_delay_alu instid0(VALU_DEP_4) | instskip(NEXT) | instid1(VALU_DEP_4)
	v_fma_f64 v[60:61], v[58:59], s[14:15], v[60:61]
	v_fma_f64 v[98:99], v[116:117], s[16:17], v[96:97]
	s_delay_alu instid0(VALU_DEP_4) | instskip(NEXT) | instid1(VALU_DEP_4)
	v_fma_f64 v[36:37], v[58:59], s[16:17], v[36:37]
	v_fma_f64 v[38:39], v[116:117], s[14:15], v[38:39]
	;; [unrolled: 3-line block ×4, first 2 shown]
	v_add_f64 v[28:29], v[104:105], v[119:120]
	v_add_f64 v[30:31], v[106:107], v[121:122]
	v_add_f64 v[36:37], v[108:109], -v[104:105]
	v_add_f64 v[38:39], v[110:111], -v[106:107]
	;; [unrolled: 1-line block ×3, first 2 shown]
	v_fma_f64 v[28:29], v[28:29], -0.5, v[24:25]
	v_fma_f64 v[30:31], v[30:31], -0.5, v[26:27]
	v_add_f64 v[24:25], v[24:25], v[104:105]
	v_add_f64 v[26:27], v[26:27], v[106:107]
	;; [unrolled: 1-line block ×3, first 2 shown]
	s_delay_alu instid0(VALU_DEP_3) | instskip(NEXT) | instid1(VALU_DEP_3)
	v_add_f64 v[24:25], v[24:25], v[108:109]
	v_add_f64 v[26:27], v[26:27], v[110:111]
	s_delay_alu instid0(VALU_DEP_2) | instskip(NEXT) | instid1(VALU_DEP_2)
	v_add_f64 v[24:25], v[24:25], v[112:113]
	v_add_f64 v[26:27], v[26:27], v[114:115]
	s_delay_alu instid0(VALU_DEP_2) | instskip(NEXT) | instid1(VALU_DEP_2)
	v_add_f64 v[104:105], v[24:25], v[119:120]
	v_add_f64 v[106:107], v[26:27], v[121:122]
	v_add_f64 v[24:25], v[114:115], -v[121:122]
	v_fma_f64 v[26:27], v[58:59], s[12:13], v[28:29]
	v_fma_f64 v[28:29], v[58:59], s[8:9], v[28:29]
	;; [unrolled: 1-line block ×4, first 2 shown]
	v_add_f64 v[24:25], v[38:39], v[24:25]
	v_fma_f64 v[26:27], v[56:57], s[14:15], v[26:27]
	v_fma_f64 v[28:29], v[56:57], s[16:17], v[28:29]
	;; [unrolled: 1-line block ×4, first 2 shown]
	v_add_f64 v[56:57], v[132:133], -v[144:145]
	v_add_f64 v[62:63], v[126:127], -v[142:143]
	;; [unrolled: 1-line block ×3, first 2 shown]
	v_fma_f64 v[108:109], v[36:37], s[18:19], v[26:27]
	v_add_f64 v[26:27], v[142:143], -v[138:139]
	v_fma_f64 v[110:111], v[24:25], s[18:19], v[38:39]
	v_fma_f64 v[114:115], v[24:25], s[18:19], v[30:31]
	v_add_f64 v[24:25], v[126:127], -v[134:135]
	v_fma_f64 v[112:113], v[36:37], s[18:19], v[28:29]
	v_add_f64 v[36:37], v[134:135], v[138:139]
	v_add_f64 v[38:39], v[136:137], v[140:141]
	s_delay_alu instid0(VALU_DEP_4) | instskip(SKIP_2) | instid1(VALU_DEP_1)
	v_add_f64 v[28:29], v[24:25], v[26:27]
	v_add_f64 v[24:25], v[132:133], -v[136:137]
	v_add_f64 v[26:27], v[144:145], -v[140:141]
	v_add_f64 v[30:31], v[24:25], v[26:27]
	ds_load_b128 v[24:27], v168 offset:2080
	s_waitcnt lgkmcnt(0)
	v_fma_f64 v[36:37], v[36:37], -0.5, v[24:25]
	v_fma_f64 v[38:39], v[38:39], -0.5, v[26:27]
	s_delay_alu instid0(VALU_DEP_2) | instskip(NEXT) | instid1(VALU_DEP_2)
	v_fma_f64 v[60:61], v[56:57], s[8:9], v[36:37]
	v_fma_f64 v[116:117], v[62:63], s[12:13], v[38:39]
	;; [unrolled: 1-line block ×4, first 2 shown]
	s_delay_alu instid0(VALU_DEP_4) | instskip(NEXT) | instid1(VALU_DEP_4)
	v_fma_f64 v[60:61], v[58:59], s[14:15], v[60:61]
	v_fma_f64 v[118:119], v[146:147], s[16:17], v[116:117]
	s_delay_alu instid0(VALU_DEP_4) | instskip(NEXT) | instid1(VALU_DEP_4)
	v_fma_f64 v[36:37], v[58:59], s[16:17], v[36:37]
	v_fma_f64 v[38:39], v[146:147], s[14:15], v[38:39]
	;; [unrolled: 3-line block ×4, first 2 shown]
	v_add_f64 v[36:37], v[126:127], v[142:143]
	v_add_f64 v[38:39], v[132:133], v[144:145]
	v_add_f64 v[60:61], v[134:135], -v[126:127]
	s_delay_alu instid0(VALU_DEP_3) | instskip(NEXT) | instid1(VALU_DEP_3)
	v_fma_f64 v[36:37], v[36:37], -0.5, v[24:25]
	v_fma_f64 v[38:39], v[38:39], -0.5, v[26:27]
	v_add_f64 v[24:25], v[24:25], v[126:127]
	v_add_f64 v[26:27], v[26:27], v[132:133]
	v_add_f64 v[126:127], v[136:137], -v[132:133]
	v_add_f64 v[132:133], v[138:139], -v[142:143]
	s_delay_alu instid0(VALU_DEP_4) | instskip(NEXT) | instid1(VALU_DEP_4)
	v_add_f64 v[24:25], v[24:25], v[134:135]
	v_add_f64 v[26:27], v[26:27], v[136:137]
	s_delay_alu instid0(VALU_DEP_3) | instskip(NEXT) | instid1(VALU_DEP_3)
	v_add_f64 v[60:61], v[60:61], v[132:133]
	v_add_f64 v[24:25], v[24:25], v[138:139]
	s_delay_alu instid0(VALU_DEP_3) | instskip(SKIP_1) | instid1(VALU_DEP_3)
	v_add_f64 v[26:27], v[26:27], v[140:141]
	v_add_f64 v[138:139], v[32:33], -v[54:55]
	v_add_f64 v[120:121], v[24:25], v[142:143]
	s_delay_alu instid0(VALU_DEP_3)
	v_add_f64 v[122:123], v[26:27], v[144:145]
	v_add_f64 v[24:25], v[140:141], -v[144:145]
	v_fma_f64 v[26:27], v[58:59], s[12:13], v[36:37]
	v_fma_f64 v[36:37], v[58:59], s[8:9], v[36:37]
	v_fma_f64 v[58:59], v[146:147], s[8:9], v[38:39]
	v_fma_f64 v[38:39], v[146:147], s[12:13], v[38:39]
	v_add_f64 v[140:141], v[40:41], -v[42:43]
	v_add_f64 v[142:143], v[34:35], -v[52:53]
	;; [unrolled: 1-line block ×4, first 2 shown]
	v_add_f64 v[126:127], v[126:127], v[24:25]
	v_fma_f64 v[24:25], v[56:57], s[14:15], v[26:27]
	v_fma_f64 v[26:27], v[56:57], s[16:17], v[36:37]
	;; [unrolled: 1-line block ×4, first 2 shown]
	ds_load_b128 v[56:59], v168 offset:3120
	v_fma_f64 v[132:133], v[60:61], s[18:19], v[24:25]
	v_fma_f64 v[24:25], v[60:61], s[18:19], v[26:27]
	;; [unrolled: 1-line block ×4, first 2 shown]
	v_add_f64 v[36:37], v[34:35], -v[48:49]
	v_add_f64 v[38:39], v[52:53], -v[50:51]
	s_delay_alu instid0(VALU_DEP_1) | instskip(SKIP_2) | instid1(VALU_DEP_1)
	v_add_f64 v[60:61], v[36:37], v[38:39]
	v_add_f64 v[36:37], v[32:33], -v[40:41]
	v_add_f64 v[38:39], v[54:55], -v[42:43]
	v_add_f64 v[62:63], v[36:37], v[38:39]
	v_add_f64 v[36:37], v[48:49], v[50:51]
	s_waitcnt lgkmcnt(0)
	s_delay_alu instid0(VALU_DEP_1) | instskip(SKIP_1) | instid1(VALU_DEP_1)
	v_fma_f64 v[126:127], v[36:37], -0.5, v[56:57]
	v_add_f64 v[36:37], v[40:41], v[42:43]
	v_fma_f64 v[136:137], v[36:37], -0.5, v[58:59]
	s_delay_alu instid0(VALU_DEP_3) | instskip(SKIP_1) | instid1(VALU_DEP_3)
	v_fma_f64 v[36:37], v[138:139], s[8:9], v[126:127]
	v_fma_f64 v[126:127], v[138:139], s[12:13], v[126:127]
	;; [unrolled: 1-line block ×3, first 2 shown]
	s_delay_alu instid0(VALU_DEP_3) | instskip(SKIP_1) | instid1(VALU_DEP_4)
	v_fma_f64 v[36:37], v[140:141], s[14:15], v[36:37]
	v_fma_f64 v[136:137], v[142:143], s[8:9], v[136:137]
	;; [unrolled: 1-line block ×3, first 2 shown]
	s_delay_alu instid0(VALU_DEP_4) | instskip(NEXT) | instid1(VALU_DEP_4)
	v_fma_f64 v[38:39], v[144:145], s[16:17], v[38:39]
	v_fma_f64 v[36:37], v[60:61], s[18:19], v[36:37]
	s_delay_alu instid0(VALU_DEP_4) | instskip(NEXT) | instid1(VALU_DEP_4)
	v_fma_f64 v[136:137], v[144:145], s[14:15], v[136:137]
	v_fma_f64 v[60:61], v[60:61], s[18:19], v[126:127]
	v_add_f64 v[126:127], v[34:35], v[52:53]
	v_fma_f64 v[38:39], v[62:63], s[18:19], v[38:39]
	s_delay_alu instid0(VALU_DEP_4) | instskip(SKIP_1) | instid1(VALU_DEP_4)
	v_fma_f64 v[62:63], v[62:63], s[18:19], v[136:137]
	v_add_f64 v[136:137], v[32:33], v[54:55]
	v_fma_f64 v[126:127], v[126:127], -0.5, v[56:57]
	v_add_f64 v[56:57], v[56:57], v[34:35]
	s_delay_alu instid0(VALU_DEP_3) | instskip(SKIP_1) | instid1(VALU_DEP_3)
	v_fma_f64 v[136:137], v[136:137], -0.5, v[58:59]
	v_add_f64 v[58:59], v[58:59], v[32:33]
	v_add_f64 v[34:35], v[56:57], v[48:49]
	s_delay_alu instid0(VALU_DEP_3) | instskip(NEXT) | instid1(VALU_DEP_3)
	v_fma_f64 v[56:57], v[144:145], s[12:13], v[136:137]
	v_add_f64 v[48:49], v[58:59], v[40:41]
	v_add_f64 v[40:41], v[40:41], -v[32:33]
	s_delay_alu instid0(VALU_DEP_4) | instskip(NEXT) | instid1(VALU_DEP_3)
	v_add_f64 v[32:33], v[34:35], v[50:51]
	v_add_f64 v[34:35], v[48:49], v[42:43]
	v_add_f64 v[48:49], v[50:51], -v[52:53]
	s_delay_alu instid0(VALU_DEP_3)
	v_add_f64 v[32:33], v[32:33], v[52:53]
	v_add_f64 v[42:43], v[42:43], -v[54:55]
	v_fma_f64 v[50:51], v[140:141], s[12:13], v[126:127]
	v_fma_f64 v[52:53], v[140:141], s[8:9], v[126:127]
	v_add_f64 v[34:35], v[34:35], v[54:55]
	v_add_f64 v[48:49], v[146:147], v[48:49]
	v_fma_f64 v[54:55], v[144:145], s[8:9], v[136:137]
	v_add_f64 v[58:59], v[40:41], v[42:43]
	v_fma_f64 v[40:41], v[138:139], s[14:15], v[50:51]
	v_fma_f64 v[50:51], v[138:139], s[16:17], v[52:53]
	ds_load_b128 v[136:139], v168 offset:4160
	v_add_f64 v[146:147], v[64:65], -v[68:69]
	v_add_f64 v[144:145], v[44:45], -v[94:95]
	s_clause 0x1
	scratch_store_b32 off, v162, off offset:64
	scratch_store_b32 off, v163, off offset:928
	ds_store_b128 v171, v[104:107] offset:1040
	ds_store_b128 v171, v[120:123] offset:2080
	ds_store_b128 v168, v[80:83]
	ds_store_b128 v171, v[72:75] offset:5200
	ds_store_b128 v171, v[96:99] offset:6240
	;; [unrolled: 1-line block ×10, first 2 shown]
	v_add_co_u32 v72, s0, 0x6000, v124
	s_delay_alu instid0(VALU_DEP_1)
	v_add_co_ci_u32_e64 v73, s0, 0, v125, s0
	v_fma_f64 v[42:43], v[142:143], s[16:17], v[54:55]
	v_fma_f64 v[54:55], v[142:143], s[14:15], v[56:57]
	;; [unrolled: 1-line block ×4, first 2 shown]
	v_add_f64 v[48:49], v[64:65], -v[46:47]
	v_add_f64 v[50:51], v[68:69], -v[70:71]
	;; [unrolled: 1-line block ×4, first 2 shown]
	v_fma_f64 v[42:43], v[58:59], s[18:19], v[42:43]
	v_fma_f64 v[54:55], v[58:59], s[18:19], v[54:55]
	v_add_f64 v[48:49], v[48:49], v[50:51]
	v_add_f64 v[50:51], v[66:67], -v[44:45]
	s_delay_alu instid0(VALU_DEP_1) | instskip(SKIP_2) | instid1(VALU_DEP_1)
	v_add_f64 v[50:51], v[50:51], v[56:57]
	v_add_f64 v[56:57], v[46:47], v[70:71]
	s_waitcnt lgkmcnt(13)
	v_fma_f64 v[126:127], v[56:57], -0.5, v[136:137]
	v_add_f64 v[56:57], v[44:45], v[94:95]
	s_delay_alu instid0(VALU_DEP_1) | instskip(NEXT) | instid1(VALU_DEP_3)
	v_fma_f64 v[140:141], v[56:57], -0.5, v[138:139]
	v_fma_f64 v[56:57], v[142:143], s[12:13], v[126:127]
	v_fma_f64 v[126:127], v[142:143], s[8:9], v[126:127]
	s_delay_alu instid0(VALU_DEP_3) | instskip(SKIP_1) | instid1(VALU_DEP_4)
	v_fma_f64 v[58:59], v[146:147], s[8:9], v[140:141]
	v_fma_f64 v[140:141], v[146:147], s[12:13], v[140:141]
	;; [unrolled: 1-line block ×3, first 2 shown]
	s_delay_alu instid0(VALU_DEP_4) | instskip(NEXT) | instid1(VALU_DEP_4)
	v_fma_f64 v[126:127], v[144:145], s[16:17], v[126:127]
	v_fma_f64 v[58:59], v[148:149], s[16:17], v[58:59]
	s_delay_alu instid0(VALU_DEP_4) | instskip(NEXT) | instid1(VALU_DEP_4)
	v_fma_f64 v[140:141], v[148:149], s[14:15], v[140:141]
	v_fma_f64 v[56:57], v[48:49], s[18:19], v[56:57]
	s_delay_alu instid0(VALU_DEP_4) | instskip(SKIP_4) | instid1(VALU_DEP_4)
	v_fma_f64 v[48:49], v[48:49], s[18:19], v[126:127]
	v_add_f64 v[126:127], v[64:65], v[68:69]
	v_fma_f64 v[58:59], v[50:51], s[18:19], v[58:59]
	v_fma_f64 v[50:51], v[50:51], s[18:19], v[140:141]
	v_add_f64 v[140:141], v[66:67], v[92:93]
	v_fma_f64 v[126:127], v[126:127], -0.5, v[136:137]
	v_add_f64 v[136:137], v[136:137], v[46:47]
	v_add_f64 v[46:47], v[46:47], -v[64:65]
	s_delay_alu instid0(VALU_DEP_4) | instskip(SKIP_3) | instid1(VALU_DEP_3)
	v_fma_f64 v[140:141], v[140:141], -0.5, v[138:139]
	v_add_f64 v[138:139], v[138:139], v[44:45]
	v_add_f64 v[44:45], v[44:45], -v[66:67]
	v_add_f64 v[64:65], v[136:137], v[64:65]
	v_add_f64 v[136:137], v[138:139], v[66:67]
	s_delay_alu instid0(VALU_DEP_2) | instskip(NEXT) | instid1(VALU_DEP_2)
	v_add_f64 v[64:65], v[64:65], v[68:69]
	v_add_f64 v[66:67], v[136:137], v[92:93]
	v_add_f64 v[136:137], v[70:71], -v[68:69]
	s_delay_alu instid0(VALU_DEP_3)
	v_add_f64 v[68:69], v[64:65], v[70:71]
	v_add_f64 v[64:65], v[94:95], -v[92:93]
	v_fma_f64 v[92:93], v[144:145], s[12:13], v[126:127]
	v_add_f64 v[70:71], v[66:67], v[94:95]
	v_fma_f64 v[66:67], v[144:145], s[8:9], v[126:127]
	v_fma_f64 v[94:95], v[148:149], s[12:13], v[140:141]
	;; [unrolled: 1-line block ×3, first 2 shown]
	v_add_f64 v[46:47], v[46:47], v[136:137]
	v_add_f64 v[136:137], v[44:45], v[64:65]
	v_fma_f64 v[92:93], v[142:143], s[16:17], v[92:93]
	v_fma_f64 v[44:45], v[142:143], s[14:15], v[66:67]
	v_fma_f64 v[66:67], v[146:147], s[16:17], v[94:95]
	v_fma_f64 v[94:95], v[146:147], s[14:15], v[126:127]
	s_delay_alu instid0(VALU_DEP_3) | instskip(NEXT) | instid1(VALU_DEP_3)
	v_fma_f64 v[64:65], v[46:47], s[18:19], v[44:45]
	v_fma_f64 v[66:67], v[136:137], s[18:19], v[66:67]
	;; [unrolled: 1-line block ×3, first 2 shown]
	s_delay_alu instid0(VALU_DEP_4)
	v_fma_f64 v[46:47], v[136:137], s[18:19], v[94:95]
	ds_store_b128 v168, v[24:27] offset:17680
	ds_store_b128 v168, v[28:31] offset:22880
	;; [unrolled: 1-line block ×12, first 2 shown]
	s_waitcnt lgkmcnt(0)
	s_waitcnt_vscnt null, 0x0
	s_barrier
	buffer_gl0_inv
	scratch_store_b64 off, v[72:73], off offset:936 ; 8-byte Folded Spill
	global_load_b128 v[72:75], v[72:73], off offset:1424
	ds_load_b128 v[76:79], v168
	ds_load_b128 v[94:97], v168 offset:6000
	ds_load_b128 v[112:115], v168 offset:12000
	ds_load_b128 v[118:121], v168 offset:14000
	ds_load_b128 v[132:135], v168 offset:16000
	ds_load_b128 v[136:139], v168 offset:18000
	ds_load_b128 v[140:143], v168 offset:20000
	ds_load_b128 v[144:147], v168 offset:22000
	ds_load_b128 v[148:151], v168 offset:24000
	ds_load_b128 v[100:103], v168 offset:8000
	ds_load_b128 v[106:109], v168 offset:10000
	s_waitcnt vmcnt(0) lgkmcnt(10)
	v_mul_f64 v[80:81], v[78:79], v[74:75]
	v_mul_f64 v[82:83], v[76:77], v[74:75]
	s_delay_alu instid0(VALU_DEP_2) | instskip(NEXT) | instid1(VALU_DEP_2)
	v_fma_f64 v[74:75], v[76:77], v[72:73], -v[80:81]
	v_fma_f64 v[76:77], v[78:79], v[72:73], v[82:83]
	v_add_co_u32 v72, s0, 0x6590, v124
	s_delay_alu instid0(VALU_DEP_1)
	v_add_co_ci_u32_e64 v73, s0, 0, v125, s0
	ds_load_b128 v[82:85], v168 offset:2000
	global_load_b128 v[78:81], v[72:73], off offset:2000
	s_waitcnt vmcnt(0) lgkmcnt(0)
	v_mul_f64 v[86:87], v[84:85], v[80:81]
	v_mul_f64 v[88:89], v[82:83], v[80:81]
	s_delay_alu instid0(VALU_DEP_2) | instskip(NEXT) | instid1(VALU_DEP_2)
	v_fma_f64 v[80:81], v[82:83], v[78:79], -v[86:87]
	v_fma_f64 v[82:83], v[84:85], v[78:79], v[88:89]
	global_load_b128 v[84:87], v[72:73], off offset:4000
	ds_load_b128 v[88:91], v168 offset:4000
	s_waitcnt vmcnt(0) lgkmcnt(0)
	v_mul_f64 v[78:79], v[90:91], v[86:87]
	v_mul_f64 v[92:93], v[88:89], v[86:87]
	s_delay_alu instid0(VALU_DEP_2) | instskip(SKIP_1) | instid1(VALU_DEP_1)
	v_fma_f64 v[86:87], v[88:89], v[84:85], -v[78:79]
	v_add_co_u32 v78, s0, 0x7000, v124
	v_add_co_ci_u32_e64 v79, s0, 0, v125, s0
	s_delay_alu instid0(VALU_DEP_4) | instskip(SKIP_4) | instid1(VALU_DEP_2)
	v_fma_f64 v[88:89], v[90:91], v[84:85], v[92:93]
	global_load_b128 v[90:93], v[78:79], off offset:3328
	s_waitcnt vmcnt(0)
	v_mul_f64 v[78:79], v[96:97], v[92:93]
	v_mul_f64 v[84:85], v[94:95], v[92:93]
	v_fma_f64 v[92:93], v[94:95], v[90:91], -v[78:79]
	v_add_co_u32 v78, s0, 0x8000, v124
	s_delay_alu instid0(VALU_DEP_1) | instskip(NEXT) | instid1(VALU_DEP_4)
	v_add_co_ci_u32_e64 v79, s0, 0, v125, s0
	v_fma_f64 v[94:95], v[96:97], v[90:91], v[84:85]
	global_load_b128 v[96:99], v[78:79], off offset:1232
	s_waitcnt vmcnt(0)
	v_mul_f64 v[84:85], v[102:103], v[98:99]
	v_mul_f64 v[90:91], v[100:101], v[98:99]
	s_delay_alu instid0(VALU_DEP_2) | instskip(NEXT) | instid1(VALU_DEP_2)
	v_fma_f64 v[98:99], v[100:101], v[96:97], -v[84:85]
	v_fma_f64 v[100:101], v[102:103], v[96:97], v[90:91]
	global_load_b128 v[102:105], v[78:79], off offset:3232
	s_waitcnt vmcnt(0)
	v_mul_f64 v[78:79], v[108:109], v[104:105]
	v_mul_f64 v[84:85], v[106:107], v[104:105]
	s_delay_alu instid0(VALU_DEP_2) | instskip(SKIP_1) | instid1(VALU_DEP_1)
	v_fma_f64 v[104:105], v[106:107], v[102:103], -v[78:79]
	v_add_co_u32 v78, s0, 0x9000, v124
	v_add_co_ci_u32_e64 v79, s0, 0, v125, s0
	s_delay_alu instid0(VALU_DEP_4) | instskip(SKIP_4) | instid1(VALU_DEP_2)
	v_fma_f64 v[106:107], v[108:109], v[102:103], v[84:85]
	global_load_b128 v[108:111], v[78:79], off offset:1136
	s_waitcnt vmcnt(0)
	v_mul_f64 v[84:85], v[114:115], v[110:111]
	v_mul_f64 v[90:91], v[112:113], v[110:111]
	v_fma_f64 v[110:111], v[112:113], v[108:109], -v[84:85]
	s_delay_alu instid0(VALU_DEP_2) | instskip(SKIP_4) | instid1(VALU_DEP_2)
	v_fma_f64 v[112:113], v[114:115], v[108:109], v[90:91]
	global_load_b128 v[114:117], v[78:79], off offset:3136
	s_waitcnt vmcnt(0)
	v_mul_f64 v[78:79], v[120:121], v[116:117]
	v_mul_f64 v[84:85], v[118:119], v[116:117]
	v_fma_f64 v[116:117], v[118:119], v[114:115], -v[78:79]
	v_add_co_u32 v78, s0, 0xa000, v124
	s_delay_alu instid0(VALU_DEP_1) | instskip(NEXT) | instid1(VALU_DEP_4)
	v_add_co_ci_u32_e64 v79, s0, 0, v125, s0
	v_fma_f64 v[118:119], v[120:121], v[114:115], v[84:85]
	global_load_b128 v[120:123], v[78:79], off offset:1040
	s_waitcnt vmcnt(0)
	v_mul_f64 v[84:85], v[134:135], v[122:123]
	v_mul_f64 v[90:91], v[132:133], v[122:123]
	s_delay_alu instid0(VALU_DEP_2) | instskip(NEXT) | instid1(VALU_DEP_2)
	v_fma_f64 v[132:133], v[132:133], v[120:121], -v[84:85]
	v_fma_f64 v[134:135], v[134:135], v[120:121], v[90:91]
	global_load_b128 v[120:123], v[78:79], off offset:3040
	s_waitcnt vmcnt(0)
	v_mul_f64 v[78:79], v[138:139], v[122:123]
	v_mul_f64 v[84:85], v[136:137], v[122:123]
	s_delay_alu instid0(VALU_DEP_2) | instskip(SKIP_1) | instid1(VALU_DEP_1)
	v_fma_f64 v[136:137], v[136:137], v[120:121], -v[78:79]
	v_add_co_u32 v78, s0, 0xb000, v124
	v_add_co_ci_u32_e64 v79, s0, 0, v125, s0
	s_delay_alu instid0(VALU_DEP_4) | instskip(SKIP_4) | instid1(VALU_DEP_2)
	v_fma_f64 v[138:139], v[138:139], v[120:121], v[84:85]
	global_load_b128 v[120:123], v[78:79], off offset:944
	s_waitcnt vmcnt(0)
	v_mul_f64 v[84:85], v[142:143], v[122:123]
	v_mul_f64 v[90:91], v[140:141], v[122:123]
	v_fma_f64 v[140:141], v[140:141], v[120:121], -v[84:85]
	s_delay_alu instid0(VALU_DEP_2) | instskip(SKIP_4) | instid1(VALU_DEP_2)
	v_fma_f64 v[142:143], v[142:143], v[120:121], v[90:91]
	global_load_b128 v[120:123], v[78:79], off offset:2944
	s_waitcnt vmcnt(0)
	v_mul_f64 v[78:79], v[146:147], v[122:123]
	v_mul_f64 v[84:85], v[144:145], v[122:123]
	v_fma_f64 v[144:145], v[144:145], v[120:121], -v[78:79]
	v_add_co_u32 v78, s0, 0xc000, v124
	s_delay_alu instid0(VALU_DEP_1) | instskip(NEXT) | instid1(VALU_DEP_4)
	v_add_co_ci_u32_e64 v79, s0, 0, v125, s0
	v_fma_f64 v[146:147], v[146:147], v[120:121], v[84:85]
	global_load_b128 v[120:123], v[78:79], off offset:848
	s_waitcnt vmcnt(0)
	v_mul_f64 v[78:79], v[150:151], v[122:123]
	v_mul_f64 v[84:85], v[148:149], v[122:123]
	s_delay_alu instid0(VALU_DEP_2) | instskip(NEXT) | instid1(VALU_DEP_2)
	v_fma_f64 v[148:149], v[148:149], v[120:121], -v[78:79]
	v_fma_f64 v[150:151], v[150:151], v[120:121], v[84:85]
	ds_store_b128 v168, v[74:77]
	ds_store_b128 v168, v[80:83] offset:2000
	ds_store_b128 v168, v[86:89] offset:4000
	;; [unrolled: 1-line block ×12, first 2 shown]
	s_and_saveexec_b32 s1, vcc_lo
	s_cbranch_execz .LBB0_9
; %bb.8:
	s_clause 0x1
	global_load_b128 v[74:77], v[72:73], off offset:1040
	global_load_b128 v[78:81], v[72:73], off offset:3040
	v_add_co_u32 v86, s0, 0x1000, v72
	s_delay_alu instid0(VALU_DEP_1)
	v_add_co_ci_u32_e64 v87, s0, 0, v73, s0
	v_add_co_u32 v94, s0, 0x2000, v72
	s_clause 0x1
	global_load_b128 v[82:85], v[86:87], off offset:944
	global_load_b128 v[86:89], v[86:87], off offset:2944
	v_add_co_ci_u32_e64 v95, s0, 0, v73, s0
	s_clause 0x1
	global_load_b128 v[90:93], v[94:95], off offset:848
	global_load_b128 v[94:97], v[94:95], off offset:2848
	v_add_co_u32 v102, s0, 0x3000, v72
	s_delay_alu instid0(VALU_DEP_1)
	v_add_co_ci_u32_e64 v103, s0, 0, v73, s0
	s_clause 0x1
	global_load_b128 v[98:101], v[102:103], off offset:752
	global_load_b128 v[102:105], v[102:103], off offset:2752
	ds_load_b128 v[106:109], v171 offset:1040
	ds_load_b128 v[110:113], v171 offset:3040
	v_add_co_u32 v126, s0, 0x4000, v72
	s_delay_alu instid0(VALU_DEP_1)
	v_add_co_ci_u32_e64 v127, s0, 0, v73, s0
	ds_load_b128 v[118:121], v171 offset:5040
	global_load_b128 v[114:117], v[126:127], off offset:656
	s_waitcnt vmcnt(8) lgkmcnt(2)
	v_mul_f64 v[122:123], v[108:109], v[76:77]
	v_mul_f64 v[76:77], v[106:107], v[76:77]
	s_waitcnt vmcnt(7) lgkmcnt(1)
	v_mul_f64 v[132:133], v[112:113], v[80:81]
	s_delay_alu instid0(VALU_DEP_3) | instskip(NEXT) | instid1(VALU_DEP_3)
	v_fma_f64 v[106:107], v[106:107], v[74:75], -v[122:123]
	v_fma_f64 v[108:109], v[108:109], v[74:75], v[76:77]
	v_mul_f64 v[76:77], v[110:111], v[80:81]
	s_waitcnt vmcnt(6) lgkmcnt(0)
	v_mul_f64 v[122:123], v[120:121], v[84:85]
	v_mul_f64 v[84:85], v[118:119], v[84:85]
	v_fma_f64 v[74:75], v[110:111], v[78:79], -v[132:133]
	s_delay_alu instid0(VALU_DEP_4)
	v_fma_f64 v[76:77], v[112:113], v[78:79], v[76:77]
	ds_load_b128 v[78:81], v171 offset:7040
	ds_load_b128 v[110:113], v171 offset:9040
	global_load_b128 v[132:135], v[126:127], off offset:2656
	v_fma_f64 v[118:119], v[118:119], v[82:83], -v[122:123]
	v_fma_f64 v[120:121], v[120:121], v[82:83], v[84:85]
	v_add_co_u32 v122, s0, 0x5000, v72
	s_delay_alu instid0(VALU_DEP_1) | instskip(SKIP_1) | instid1(VALU_DEP_1)
	v_add_co_ci_u32_e64 v123, s0, 0, v73, s0
	v_add_co_u32 v72, s0, 0x6000, v72
	v_add_co_ci_u32_e64 v73, s0, 0, v73, s0
	ds_load_b128 v[136:139], v171 offset:25040
	s_waitcnt vmcnt(6) lgkmcnt(2)
	v_mul_f64 v[82:83], v[80:81], v[88:89]
	v_mul_f64 v[84:85], v[78:79], v[88:89]
	s_waitcnt vmcnt(5) lgkmcnt(1)
	v_mul_f64 v[88:89], v[112:113], v[92:93]
	v_mul_f64 v[92:93], v[110:111], v[92:93]
	s_delay_alu instid0(VALU_DEP_4) | instskip(NEXT) | instid1(VALU_DEP_4)
	v_fma_f64 v[78:79], v[78:79], v[86:87], -v[82:83]
	v_fma_f64 v[80:81], v[80:81], v[86:87], v[84:85]
	ds_load_b128 v[82:85], v171 offset:11040
	v_fma_f64 v[86:87], v[110:111], v[90:91], -v[88:89]
	v_fma_f64 v[88:89], v[112:113], v[90:91], v[92:93]
	global_load_b128 v[90:93], v[122:123], off offset:560
	s_waitcnt vmcnt(5) lgkmcnt(0)
	v_mul_f64 v[110:111], v[84:85], v[96:97]
	v_mul_f64 v[96:97], v[82:83], v[96:97]
	s_delay_alu instid0(VALU_DEP_2)
	v_fma_f64 v[82:83], v[82:83], v[94:95], -v[110:111]
	global_load_b128 v[110:113], v[122:123], off offset:2560
	v_fma_f64 v[84:85], v[84:85], v[94:95], v[96:97]
	ds_load_b128 v[94:97], v171 offset:13040
	s_waitcnt vmcnt(5) lgkmcnt(0)
	v_mul_f64 v[122:123], v[96:97], v[100:101]
	v_mul_f64 v[100:101], v[94:95], v[100:101]
	s_delay_alu instid0(VALU_DEP_2) | instskip(NEXT) | instid1(VALU_DEP_2)
	v_fma_f64 v[94:95], v[94:95], v[98:99], -v[122:123]
	v_fma_f64 v[96:97], v[96:97], v[98:99], v[100:101]
	ds_load_b128 v[98:101], v171 offset:15040
	s_waitcnt vmcnt(4) lgkmcnt(0)
	v_mul_f64 v[122:123], v[100:101], v[104:105]
	v_mul_f64 v[104:105], v[98:99], v[104:105]
	s_delay_alu instid0(VALU_DEP_2) | instskip(NEXT) | instid1(VALU_DEP_2)
	v_fma_f64 v[98:99], v[98:99], v[102:103], -v[122:123]
	;; [unrolled: 7-line block ×6, first 2 shown]
	v_fma_f64 v[92:93], v[92:93], v[110:111], v[112:113]
	global_load_b128 v[110:113], v[72:73], off offset:464
	s_waitcnt vmcnt(0)
	v_mul_f64 v[72:73], v[138:139], v[112:113]
	v_mul_f64 v[112:113], v[136:137], v[112:113]
	s_delay_alu instid0(VALU_DEP_2) | instskip(NEXT) | instid1(VALU_DEP_2)
	v_fma_f64 v[136:137], v[136:137], v[110:111], -v[72:73]
	v_fma_f64 v[138:139], v[138:139], v[110:111], v[112:113]
	ds_store_b128 v171, v[106:109] offset:1040
	ds_store_b128 v171, v[74:77] offset:3040
	;; [unrolled: 1-line block ×13, first 2 shown]
.LBB0_9:
	s_or_b32 exec_lo, exec_lo, s1
	s_waitcnt lgkmcnt(0)
	s_waitcnt_vscnt null, 0x0
	s_barrier
	buffer_gl0_inv
	ds_load_b128 v[72:75], v168
	ds_load_b128 v[76:79], v168 offset:2000
	ds_load_b128 v[80:83], v168 offset:4000
	;; [unrolled: 1-line block ×12, first 2 shown]
	s_and_saveexec_b32 s0, vcc_lo
	s_cbranch_execz .LBB0_11
; %bb.10:
	ds_load_b128 v[24:27], v171 offset:1040
	ds_load_b128 v[28:31], v171 offset:3040
	;; [unrolled: 1-line block ×13, first 2 shown]
	s_waitcnt lgkmcnt(0)
	scratch_store_b128 off, v[132:135], off ; 16-byte Folded Spill
.LBB0_11:
	s_or_b32 exec_lo, exec_lo, s0
	s_waitcnt lgkmcnt(11)
	v_add_f64 v[126:127], v[72:73], v[76:77]
	v_add_f64 v[132:133], v[74:75], v[78:79]
	s_waitcnt lgkmcnt(2)
	v_add_f64 v[140:141], v[90:91], -v[98:99]
	s_waitcnt lgkmcnt(1)
	v_add_f64 v[142:143], v[82:83], v[94:95]
	v_add_f64 v[148:149], v[82:83], -v[94:95]
	s_mov_b32 s42, 0x4267c47c
	s_mov_b32 s24, 0x42a4c3d2
	;; [unrolled: 1-line block ×31, first 2 shown]
	s_waitcnt lgkmcnt(0)
	s_waitcnt_vscnt null, 0x0
	s_barrier
	v_add_f64 v[126:127], v[126:127], v[80:81]
	v_add_f64 v[132:133], v[132:133], v[82:83]
	buffer_gl0_inv
	v_add_f64 v[126:127], v[126:127], v[88:89]
	v_add_f64 v[132:133], v[132:133], v[90:91]
	s_delay_alu instid0(VALU_DEP_2) | instskip(NEXT) | instid1(VALU_DEP_2)
	v_add_f64 v[126:127], v[126:127], v[100:101]
	v_add_f64 v[132:133], v[132:133], v[102:103]
	s_delay_alu instid0(VALU_DEP_2) | instskip(NEXT) | instid1(VALU_DEP_2)
	;; [unrolled: 3-line block ×3, first 2 shown]
	v_add_f64 v[134:135], v[126:127], v[120:121]
	v_add_f64 v[136:137], v[132:133], v[122:123]
	;; [unrolled: 1-line block ×3, first 2 shown]
	v_add_f64 v[120:121], v[120:121], -v[116:117]
	v_add_f64 v[132:133], v[122:123], v[118:119]
	v_add_f64 v[122:123], v[122:123], -v[118:119]
	v_add_f64 v[138:139], v[134:135], v[116:117]
	v_add_f64 v[136:137], v[136:137], v[118:119]
	;; [unrolled: 1-line block ×3, first 2 shown]
	v_add_f64 v[108:109], v[108:109], -v[112:113]
	v_add_f64 v[118:119], v[110:111], v[114:115]
	v_add_f64 v[134:135], v[110:111], -v[114:115]
	v_add_f64 v[110:111], v[100:101], v[104:105]
	v_add_f64 v[100:101], v[100:101], -v[104:105]
	v_mul_f64 v[202:203], v[132:133], s[0:1]
	v_add_f64 v[112:113], v[138:139], v[112:113]
	v_add_f64 v[138:139], v[136:137], v[114:115]
	;; [unrolled: 1-line block ×3, first 2 shown]
	v_add_f64 v[136:137], v[102:103], -v[106:107]
	v_add_f64 v[102:103], v[88:89], v[96:97]
	v_add_f64 v[88:89], v[88:89], -v[96:97]
	v_add_f64 v[104:105], v[112:113], v[104:105]
	v_add_f64 v[106:107], v[138:139], v[106:107]
	;; [unrolled: 1-line block ×4, first 2 shown]
	v_add_f64 v[80:81], v[80:81], -v[92:93]
	v_add_f64 v[96:97], v[104:105], v[96:97]
	v_add_f64 v[98:99], v[106:107], v[98:99]
	v_add_f64 v[104:105], v[76:77], -v[84:85]
	s_delay_alu instid0(VALU_DEP_3) | instskip(NEXT) | instid1(VALU_DEP_3)
	v_add_f64 v[82:83], v[96:97], v[92:93]
	v_add_f64 v[92:93], v[98:99], v[94:95]
	v_add_f64 v[94:95], v[78:79], -v[86:87]
	v_add_f64 v[96:97], v[76:77], v[84:85]
	v_add_f64 v[98:99], v[78:79], v[86:87]
	;; [unrolled: 1-line block ×4, first 2 shown]
	v_mul_f64 v[82:83], v[94:95], s[42:43]
	v_mul_f64 v[84:85], v[94:95], s[24:25]
	;; [unrolled: 1-line block ×9, first 2 shown]
	v_fma_f64 v[112:113], v[96:97], s[26:27], v[82:83]
	v_fma_f64 v[82:83], v[96:97], s[26:27], -v[82:83]
	v_fma_f64 v[144:145], v[96:97], s[16:17], v[84:85]
	v_fma_f64 v[146:147], v[96:97], s[16:17], -v[84:85]
	;; [unrolled: 2-line block ×6, first 2 shown]
	v_mul_f64 v[84:85], v[98:99], s[26:27]
	v_mul_f64 v[96:97], v[98:99], s[16:17]
	;; [unrolled: 1-line block ×3, first 2 shown]
	v_fma_f64 v[166:167], v[104:105], s[30:31], v[156:157]
	v_fma_f64 v[174:175], v[104:105], s[36:37], v[158:159]
	v_fma_f64 v[158:159], v[104:105], s[20:21], v[158:159]
	v_fma_f64 v[156:157], v[104:105], s[22:23], v[156:157]
	v_fma_f64 v[176:177], v[104:105], s[34:35], v[160:161]
	v_fma_f64 v[178:179], v[104:105], s[18:19], v[160:161]
	v_add_f64 v[82:83], v[72:73], v[82:83]
	v_add_f64 v[182:183], v[72:73], v[144:145]
	;; [unrolled: 1-line block ×5, first 2 shown]
	v_mul_f64 v[86:87], v[148:149], s[24:25]
	v_add_f64 v[198:199], v[72:73], v[152:153]
	v_add_f64 v[146:147], v[72:73], v[94:95]
	v_fma_f64 v[162:163], v[104:105], s[28:29], v[84:85]
	v_fma_f64 v[164:165], v[104:105], s[38:39], v[96:97]
	;; [unrolled: 1-line block ×6, first 2 shown]
	v_add_f64 v[104:105], v[72:73], v[112:113]
	v_add_f64 v[192:193], v[74:75], v[166:167]
	;; [unrolled: 1-line block ×3, first 2 shown]
	v_mul_f64 v[94:95], v[140:141], s[22:23]
	v_mul_f64 v[92:93], v[142:143], s[16:17]
	v_add_f64 v[196:197], v[74:75], v[156:157]
	v_add_f64 v[200:201], v[74:75], v[174:175]
	;; [unrolled: 1-line block ×4, first 2 shown]
	v_mul_f64 v[176:177], v[148:149], s[20:21]
	v_mul_f64 v[178:179], v[142:143], s[8:9]
	v_add_f64 v[112:113], v[74:75], v[162:163]
	v_add_f64 v[184:185], v[74:75], v[164:165]
	;; [unrolled: 1-line block ×6, first 2 shown]
	v_fma_f64 v[72:73], v[90:91], s[16:17], v[86:87]
	v_add_f64 v[188:189], v[74:75], v[96:97]
	v_add_f64 v[84:85], v[74:75], v[84:85]
	v_fma_f64 v[96:97], v[102:103], s[12:13], v[94:95]
	v_add_f64 v[152:153], v[74:75], v[180:181]
	v_add_f64 v[144:145], v[74:75], v[98:99]
	v_fma_f64 v[74:75], v[80:81], s[38:39], v[92:93]
	v_mul_f64 v[180:181], v[140:141], s[14:15]
	v_fma_f64 v[86:87], v[90:91], s[16:17], -v[86:87]
	v_fma_f64 v[174:175], v[80:81], s[36:37], v[178:179]
	v_fma_f64 v[178:179], v[80:81], s[20:21], v[178:179]
	v_add_f64 v[72:73], v[72:73], v[104:105]
	v_add_f64 v[74:75], v[74:75], v[112:113]
	;; [unrolled: 1-line block ×5, first 2 shown]
	v_mul_f64 v[188:189], v[140:141], s[36:37]
	v_add_f64 v[72:73], v[96:97], v[72:73]
	v_mul_f64 v[96:97], v[138:139], s[12:13]
	s_delay_alu instid0(VALU_DEP_1) | instskip(SKIP_3) | instid1(VALU_DEP_4)
	v_fma_f64 v[98:99], v[88:89], s[30:31], v[96:97]
	v_fma_f64 v[86:87], v[88:89], s[22:23], v[96:97]
	v_add_nc_u32_e32 v97, 0xc30, v168
	v_add_nc_u32_e32 v96, 0x1040, v168
	v_add_f64 v[74:75], v[98:99], v[74:75]
	v_mul_f64 v[98:99], v[136:137], s[20:21]
	s_delay_alu instid0(VALU_DEP_1) | instskip(NEXT) | instid1(VALU_DEP_1)
	v_fma_f64 v[104:105], v[110:111], s[8:9], v[98:99]
	v_add_f64 v[72:73], v[104:105], v[72:73]
	v_mul_f64 v[104:105], v[114:115], s[8:9]
	s_delay_alu instid0(VALU_DEP_1) | instskip(NEXT) | instid1(VALU_DEP_1)
	v_fma_f64 v[106:107], v[100:101], s[36:37], v[104:105]
	;; [unrolled: 4-line block ×5, first 2 shown]
	v_add_f64 v[72:73], v[172:173], v[72:73]
	v_fma_f64 v[172:173], v[120:121], s[40:41], v[202:203]
	s_delay_alu instid0(VALU_DEP_1) | instskip(SKIP_2) | instid1(VALU_DEP_2)
	v_add_f64 v[74:75], v[172:173], v[74:75]
	v_fma_f64 v[172:173], v[90:91], s[8:9], v[176:177]
	v_fma_f64 v[176:177], v[90:91], s[8:9], -v[176:177]
	v_add_f64 v[172:173], v[172:173], v[182:183]
	v_fma_f64 v[182:183], v[102:103], s[0:1], v[180:181]
	s_delay_alu instid0(VALU_DEP_3) | instskip(SKIP_2) | instid1(VALU_DEP_4)
	v_add_f64 v[176:177], v[176:177], v[186:187]
	v_fma_f64 v[180:181], v[102:103], s[0:1], -v[180:181]
	v_mul_f64 v[186:187], v[142:143], s[0:1]
	v_add_f64 v[172:173], v[182:183], v[172:173]
	v_mul_f64 v[182:183], v[138:139], s[0:1]
	s_delay_alu instid0(VALU_DEP_4) | instskip(NEXT) | instid1(VALU_DEP_2)
	v_add_f64 v[176:177], v[180:181], v[176:177]
	v_fma_f64 v[184:185], v[88:89], s[40:41], v[182:183]
	v_fma_f64 v[180:181], v[88:89], s[14:15], v[182:183]
	s_delay_alu instid0(VALU_DEP_2) | instskip(SKIP_1) | instid1(VALU_DEP_3)
	v_add_f64 v[174:175], v[184:185], v[174:175]
	v_mul_f64 v[184:185], v[136:137], s[34:35]
	v_add_f64 v[178:179], v[180:181], v[178:179]
	s_delay_alu instid0(VALU_DEP_2) | instskip(SKIP_2) | instid1(VALU_DEP_3)
	v_fma_f64 v[204:205], v[110:111], s[2:3], v[184:185]
	v_fma_f64 v[180:181], v[110:111], s[2:3], -v[184:185]
	v_mul_f64 v[184:185], v[148:149], s[14:15]
	v_add_f64 v[172:173], v[204:205], v[172:173]
	v_mul_f64 v[204:205], v[114:115], s[2:3]
	s_delay_alu instid0(VALU_DEP_4) | instskip(NEXT) | instid1(VALU_DEP_2)
	v_add_f64 v[176:177], v[180:181], v[176:177]
	v_fma_f64 v[206:207], v[100:101], s[18:19], v[204:205]
	v_fma_f64 v[180:181], v[100:101], s[34:35], v[204:205]
	s_delay_alu instid0(VALU_DEP_2) | instskip(SKIP_1) | instid1(VALU_DEP_3)
	v_add_f64 v[174:175], v[206:207], v[174:175]
	v_mul_f64 v[206:207], v[134:135], s[30:31]
	v_add_f64 v[178:179], v[180:181], v[178:179]
	s_delay_alu instid0(VALU_DEP_2) | instskip(SKIP_1) | instid1(VALU_DEP_2)
	v_fma_f64 v[208:209], v[116:117], s[12:13], v[206:207]
	v_fma_f64 v[180:181], v[116:117], s[12:13], -v[206:207]
	v_add_f64 v[172:173], v[208:209], v[172:173]
	v_mul_f64 v[208:209], v[118:119], s[12:13]
	s_delay_alu instid0(VALU_DEP_3) | instskip(NEXT) | instid1(VALU_DEP_2)
	v_add_f64 v[176:177], v[180:181], v[176:177]
	v_fma_f64 v[210:211], v[108:109], s[22:23], v[208:209]
	v_fma_f64 v[180:181], v[108:109], s[30:31], v[208:209]
	s_delay_alu instid0(VALU_DEP_2) | instskip(SKIP_1) | instid1(VALU_DEP_3)
	v_add_f64 v[174:175], v[210:211], v[174:175]
	v_mul_f64 v[210:211], v[122:123], s[28:29]
	v_add_f64 v[178:179], v[180:181], v[178:179]
	s_delay_alu instid0(VALU_DEP_2) | instskip(SKIP_1) | instid1(VALU_DEP_2)
	v_fma_f64 v[212:213], v[126:127], s[26:27], v[210:211]
	v_fma_f64 v[180:181], v[126:127], s[26:27], -v[210:211]
	v_add_f64 v[172:173], v[212:213], v[172:173]
	v_mul_f64 v[212:213], v[132:133], s[26:27]
	s_delay_alu instid0(VALU_DEP_3) | instskip(SKIP_2) | instid1(VALU_DEP_4)
	v_add_f64 v[176:177], v[180:181], v[176:177]
	v_fma_f64 v[180:181], v[90:91], s[0:1], v[184:185]
	v_fma_f64 v[184:185], v[90:91], s[0:1], -v[184:185]
	v_fma_f64 v[182:183], v[120:121], s[28:29], v[212:213]
	v_fma_f64 v[214:215], v[120:121], s[42:43], v[212:213]
	s_delay_alu instid0(VALU_DEP_4)
	v_add_f64 v[180:181], v[180:181], v[190:191]
	v_fma_f64 v[190:191], v[102:103], s[8:9], v[188:189]
	v_add_f64 v[184:185], v[184:185], v[194:195]
	v_fma_f64 v[188:189], v[102:103], s[8:9], -v[188:189]
	v_mul_f64 v[194:195], v[142:143], s[2:3]
	v_add_f64 v[178:179], v[182:183], v[178:179]
	v_fma_f64 v[182:183], v[80:81], s[40:41], v[186:187]
	v_fma_f64 v[186:187], v[80:81], s[14:15], v[186:187]
	v_add_f64 v[180:181], v[190:191], v[180:181]
	v_mul_f64 v[190:191], v[138:139], s[8:9]
	v_add_f64 v[184:185], v[188:189], v[184:185]
	v_add_f64 v[174:175], v[214:215], v[174:175]
	;; [unrolled: 1-line block ×4, first 2 shown]
	v_mul_f64 v[196:197], v[140:141], s[28:29]
	v_fma_f64 v[192:193], v[88:89], s[20:21], v[190:191]
	v_fma_f64 v[188:189], v[88:89], s[36:37], v[190:191]
	s_delay_alu instid0(VALU_DEP_2) | instskip(SKIP_1) | instid1(VALU_DEP_3)
	v_add_f64 v[182:183], v[192:193], v[182:183]
	v_mul_f64 v[192:193], v[136:137], s[28:29]
	v_add_f64 v[186:187], v[188:189], v[186:187]
	s_delay_alu instid0(VALU_DEP_2) | instskip(SKIP_2) | instid1(VALU_DEP_3)
	v_fma_f64 v[204:205], v[110:111], s[26:27], v[192:193]
	v_fma_f64 v[188:189], v[110:111], s[26:27], -v[192:193]
	v_mul_f64 v[192:193], v[148:149], s[34:35]
	v_add_f64 v[180:181], v[204:205], v[180:181]
	v_mul_f64 v[204:205], v[114:115], s[26:27]
	s_delay_alu instid0(VALU_DEP_4) | instskip(NEXT) | instid1(VALU_DEP_2)
	v_add_f64 v[184:185], v[188:189], v[184:185]
	v_fma_f64 v[206:207], v[100:101], s[42:43], v[204:205]
	v_fma_f64 v[188:189], v[100:101], s[28:29], v[204:205]
	s_delay_alu instid0(VALU_DEP_2) | instskip(SKIP_1) | instid1(VALU_DEP_3)
	v_add_f64 v[182:183], v[206:207], v[182:183]
	v_mul_f64 v[206:207], v[134:135], s[24:25]
	v_add_f64 v[186:187], v[188:189], v[186:187]
	s_delay_alu instid0(VALU_DEP_2) | instskip(SKIP_1) | instid1(VALU_DEP_2)
	v_fma_f64 v[208:209], v[116:117], s[16:17], v[206:207]
	v_fma_f64 v[188:189], v[116:117], s[16:17], -v[206:207]
	v_add_f64 v[180:181], v[208:209], v[180:181]
	v_mul_f64 v[208:209], v[118:119], s[16:17]
	s_delay_alu instid0(VALU_DEP_3) | instskip(NEXT) | instid1(VALU_DEP_2)
	v_add_f64 v[184:185], v[188:189], v[184:185]
	v_fma_f64 v[210:211], v[108:109], s[38:39], v[208:209]
	v_fma_f64 v[188:189], v[108:109], s[24:25], v[208:209]
	s_delay_alu instid0(VALU_DEP_2) | instskip(SKIP_1) | instid1(VALU_DEP_3)
	v_add_f64 v[182:183], v[210:211], v[182:183]
	v_mul_f64 v[210:211], v[122:123], s[18:19]
	v_add_f64 v[186:187], v[188:189], v[186:187]
	s_delay_alu instid0(VALU_DEP_2) | instskip(SKIP_1) | instid1(VALU_DEP_2)
	v_fma_f64 v[212:213], v[126:127], s[2:3], v[210:211]
	v_fma_f64 v[188:189], v[126:127], s[2:3], -v[210:211]
	v_add_f64 v[180:181], v[212:213], v[180:181]
	v_mul_f64 v[212:213], v[132:133], s[2:3]
	s_delay_alu instid0(VALU_DEP_3) | instskip(SKIP_2) | instid1(VALU_DEP_4)
	v_add_f64 v[184:185], v[188:189], v[184:185]
	v_fma_f64 v[188:189], v[90:91], s[2:3], v[192:193]
	v_fma_f64 v[192:193], v[90:91], s[2:3], -v[192:193]
	v_fma_f64 v[190:191], v[120:121], s[18:19], v[212:213]
	v_fma_f64 v[214:215], v[120:121], s[34:35], v[212:213]
	s_delay_alu instid0(VALU_DEP_4)
	v_add_f64 v[188:189], v[188:189], v[198:199]
	v_fma_f64 v[198:199], v[102:103], s[26:27], v[196:197]
	v_add_f64 v[166:167], v[192:193], v[166:167]
	v_fma_f64 v[192:193], v[80:81], s[34:35], v[194:195]
	;; [unrolled: 2-line block ×3, first 2 shown]
	v_add_f64 v[182:183], v[214:215], v[182:183]
	v_add_f64 v[188:189], v[198:199], v[188:189]
	v_mul_f64 v[198:199], v[138:139], s[26:27]
	v_add_f64 v[164:165], v[192:193], v[164:165]
	v_fma_f64 v[192:193], v[102:103], s[26:27], -v[196:197]
	v_add_f64 v[190:191], v[190:191], v[200:201]
	s_delay_alu instid0(VALU_DEP_4) | instskip(NEXT) | instid1(VALU_DEP_3)
	v_fma_f64 v[200:201], v[88:89], s[42:43], v[198:199]
	v_add_f64 v[166:167], v[192:193], v[166:167]
	v_fma_f64 v[192:193], v[88:89], s[28:29], v[198:199]
	s_delay_alu instid0(VALU_DEP_3) | instskip(SKIP_1) | instid1(VALU_DEP_3)
	v_add_f64 v[190:191], v[200:201], v[190:191]
	v_mul_f64 v[200:201], v[136:137], s[22:23]
	v_add_f64 v[164:165], v[192:193], v[164:165]
	s_delay_alu instid0(VALU_DEP_2) | instskip(SKIP_1) | instid1(VALU_DEP_2)
	v_fma_f64 v[204:205], v[110:111], s[12:13], v[200:201]
	v_fma_f64 v[192:193], v[110:111], s[12:13], -v[200:201]
	v_add_f64 v[188:189], v[204:205], v[188:189]
	v_mul_f64 v[204:205], v[114:115], s[12:13]
	s_delay_alu instid0(VALU_DEP_3) | instskip(NEXT) | instid1(VALU_DEP_2)
	v_add_f64 v[166:167], v[192:193], v[166:167]
	v_fma_f64 v[206:207], v[100:101], s[30:31], v[204:205]
	v_fma_f64 v[192:193], v[100:101], s[22:23], v[204:205]
	s_delay_alu instid0(VALU_DEP_2) | instskip(SKIP_1) | instid1(VALU_DEP_3)
	v_add_f64 v[190:191], v[206:207], v[190:191]
	v_mul_f64 v[206:207], v[134:135], s[40:41]
	v_add_f64 v[164:165], v[192:193], v[164:165]
	s_delay_alu instid0(VALU_DEP_2) | instskip(SKIP_1) | instid1(VALU_DEP_2)
	v_fma_f64 v[208:209], v[116:117], s[0:1], v[206:207]
	v_fma_f64 v[192:193], v[116:117], s[0:1], -v[206:207]
	v_add_f64 v[188:189], v[208:209], v[188:189]
	v_mul_f64 v[208:209], v[118:119], s[0:1]
	s_delay_alu instid0(VALU_DEP_3) | instskip(NEXT) | instid1(VALU_DEP_2)
	v_add_f64 v[166:167], v[192:193], v[166:167]
	v_fma_f64 v[210:211], v[108:109], s[14:15], v[208:209]
	v_fma_f64 v[192:193], v[108:109], s[40:41], v[208:209]
	s_delay_alu instid0(VALU_DEP_2) | instskip(SKIP_1) | instid1(VALU_DEP_3)
	v_add_f64 v[190:191], v[210:211], v[190:191]
	v_mul_f64 v[210:211], v[122:123], s[38:39]
	v_add_f64 v[192:193], v[192:193], v[164:165]
	s_delay_alu instid0(VALU_DEP_2) | instskip(SKIP_1) | instid1(VALU_DEP_2)
	v_fma_f64 v[212:213], v[126:127], s[16:17], v[210:211]
	v_fma_f64 v[164:165], v[126:127], s[16:17], -v[210:211]
	v_add_f64 v[188:189], v[212:213], v[188:189]
	v_mul_f64 v[212:213], v[132:133], s[16:17]
	s_delay_alu instid0(VALU_DEP_3) | instskip(NEXT) | instid1(VALU_DEP_2)
	v_add_f64 v[164:165], v[164:165], v[166:167]
	v_fma_f64 v[194:195], v[120:121], s[38:39], v[212:213]
	v_fma_f64 v[214:215], v[120:121], s[24:25], v[212:213]
	v_mul_f64 v[212:213], v[122:123], s[20:21]
	v_mul_f64 v[122:123], v[122:123], s[30:31]
	s_delay_alu instid0(VALU_DEP_4) | instskip(SKIP_4) | instid1(VALU_DEP_4)
	v_add_f64 v[166:167], v[194:195], v[192:193]
	v_mul_f64 v[192:193], v[148:149], s[30:31]
	v_add_f64 v[190:191], v[214:215], v[190:191]
	v_mul_f64 v[214:215], v[132:133], s[8:9]
	v_mul_f64 v[148:149], v[148:149], s[28:29]
	v_fma_f64 v[194:195], v[90:91], s[12:13], v[192:193]
	v_fma_f64 v[192:193], v[90:91], s[12:13], -v[192:193]
	s_delay_alu instid0(VALU_DEP_2) | instskip(SKIP_1) | instid1(VALU_DEP_3)
	v_add_f64 v[162:163], v[194:195], v[162:163]
	v_mul_f64 v[194:195], v[142:143], s[12:13]
	v_add_f64 v[158:159], v[192:193], v[158:159]
	v_mul_f64 v[142:143], v[142:143], s[26:27]
	s_delay_alu instid0(VALU_DEP_3) | instskip(SKIP_2) | instid1(VALU_DEP_3)
	v_fma_f64 v[196:197], v[80:81], s[22:23], v[194:195]
	v_fma_f64 v[192:193], v[80:81], s[30:31], v[194:195]
	;; [unrolled: 1-line block ×3, first 2 shown]
	v_add_f64 v[160:161], v[196:197], v[160:161]
	v_mul_f64 v[196:197], v[140:141], s[24:25]
	s_delay_alu instid0(VALU_DEP_4) | instskip(SKIP_1) | instid1(VALU_DEP_3)
	v_add_f64 v[156:157], v[192:193], v[156:157]
	v_mul_f64 v[140:141], v[140:141], s[18:19]
	v_fma_f64 v[198:199], v[102:103], s[16:17], v[196:197]
	v_fma_f64 v[192:193], v[102:103], s[16:17], -v[196:197]
	s_delay_alu instid0(VALU_DEP_2) | instskip(SKIP_1) | instid1(VALU_DEP_3)
	v_add_f64 v[162:163], v[198:199], v[162:163]
	v_mul_f64 v[198:199], v[138:139], s[16:17]
	v_add_f64 v[158:159], v[192:193], v[158:159]
	v_mul_f64 v[138:139], v[138:139], s[2:3]
	s_delay_alu instid0(VALU_DEP_3) | instskip(SKIP_1) | instid1(VALU_DEP_2)
	v_fma_f64 v[200:201], v[88:89], s[38:39], v[198:199]
	v_fma_f64 v[192:193], v[88:89], s[24:25], v[198:199]
	v_add_f64 v[160:161], v[200:201], v[160:161]
	v_mul_f64 v[200:201], v[136:137], s[40:41]
	s_delay_alu instid0(VALU_DEP_3) | instskip(SKIP_1) | instid1(VALU_DEP_3)
	v_add_f64 v[156:157], v[192:193], v[156:157]
	v_mul_f64 v[136:137], v[136:137], s[38:39]
	v_fma_f64 v[204:205], v[110:111], s[0:1], v[200:201]
	v_fma_f64 v[192:193], v[110:111], s[0:1], -v[200:201]
	s_delay_alu instid0(VALU_DEP_2) | instskip(SKIP_1) | instid1(VALU_DEP_3)
	v_add_f64 v[162:163], v[204:205], v[162:163]
	v_mul_f64 v[204:205], v[114:115], s[0:1]
	v_add_f64 v[158:159], v[192:193], v[158:159]
	v_mul_f64 v[114:115], v[114:115], s[16:17]
	s_delay_alu instid0(VALU_DEP_3) | instskip(SKIP_1) | instid1(VALU_DEP_2)
	v_fma_f64 v[206:207], v[100:101], s[14:15], v[204:205]
	v_fma_f64 v[192:193], v[100:101], s[40:41], v[204:205]
	v_add_f64 v[160:161], v[206:207], v[160:161]
	v_mul_f64 v[206:207], v[134:135], s[28:29]
	s_delay_alu instid0(VALU_DEP_3) | instskip(NEXT) | instid1(VALU_DEP_2)
	v_add_f64 v[156:157], v[192:193], v[156:157]
	v_fma_f64 v[208:209], v[116:117], s[26:27], v[206:207]
	v_fma_f64 v[192:193], v[116:117], s[26:27], -v[206:207]
	s_delay_alu instid0(VALU_DEP_2) | instskip(SKIP_1) | instid1(VALU_DEP_3)
	v_add_f64 v[162:163], v[208:209], v[162:163]
	v_mul_f64 v[208:209], v[118:119], s[26:27]
	v_add_f64 v[158:159], v[192:193], v[158:159]
	v_mul_f64 v[118:119], v[118:119], s[8:9]
	s_delay_alu instid0(VALU_DEP_3) | instskip(SKIP_1) | instid1(VALU_DEP_2)
	v_fma_f64 v[192:193], v[108:109], s[28:29], v[208:209]
	v_fma_f64 v[210:211], v[108:109], s[42:43], v[208:209]
	v_add_f64 v[192:193], v[192:193], v[156:157]
	v_fma_f64 v[156:157], v[126:127], s[8:9], -v[212:213]
	s_delay_alu instid0(VALU_DEP_3) | instskip(SKIP_1) | instid1(VALU_DEP_3)
	v_add_f64 v[210:211], v[210:211], v[160:161]
	v_fma_f64 v[160:161], v[126:127], s[8:9], v[212:213]
	v_add_f64 v[156:157], v[156:157], v[158:159]
	v_add_f64 v[158:159], v[194:195], v[192:193]
	v_fma_f64 v[192:193], v[90:91], s[26:27], v[148:149]
	v_fma_f64 v[148:149], v[90:91], s[26:27], -v[148:149]
	v_add_f64 v[160:161], v[160:161], v[162:163]
	v_fma_f64 v[162:163], v[120:121], s[36:37], v[214:215]
	s_delay_alu instid0(VALU_DEP_4)
	v_add_f64 v[154:155], v[192:193], v[154:155]
	v_fma_f64 v[192:193], v[80:81], s[42:43], v[142:143]
	v_fma_f64 v[142:143], v[80:81], s[28:29], v[142:143]
	;; [unrolled: 1-line block ×3, first 2 shown]
	v_add_f64 v[146:147], v[148:149], v[146:147]
	v_add_f64 v[162:163], v[162:163], v[210:211]
	;; [unrolled: 1-line block ×3, first 2 shown]
	v_fma_f64 v[192:193], v[102:103], s[2:3], v[140:141]
	v_add_f64 v[142:143], v[142:143], v[144:145]
	v_fma_f64 v[140:141], v[102:103], s[2:3], -v[140:141]
	v_add_f64 v[80:81], v[80:81], v[84:85]
	v_fma_f64 v[84:85], v[102:103], s[12:13], -v[94:95]
	v_add_f64 v[154:155], v[192:193], v[154:155]
	v_fma_f64 v[192:193], v[88:89], s[34:35], v[138:139]
	v_fma_f64 v[138:139], v[88:89], s[18:19], v[138:139]
	v_add_f64 v[140:141], v[140:141], v[146:147]
	v_add_f64 v[82:83], v[84:85], v[82:83]
	;; [unrolled: 1-line block ×3, first 2 shown]
	v_fma_f64 v[84:85], v[110:111], s[8:9], -v[98:99]
	v_fma_f64 v[86:87], v[100:101], s[20:21], v[104:105]
	v_add_nc_u32_e32 v98, 0x820, v168
	v_add_f64 v[152:153], v[192:193], v[152:153]
	v_fma_f64 v[192:193], v[110:111], s[16:17], v[136:137]
	v_add_f64 v[138:139], v[138:139], v[142:143]
	v_fma_f64 v[136:137], v[110:111], s[16:17], -v[136:137]
	v_add_f64 v[82:83], v[84:85], v[82:83]
	v_add_f64 v[80:81], v[86:87], v[80:81]
	v_fma_f64 v[84:85], v[116:117], s[2:3], -v[106:107]
	v_fma_f64 v[86:87], v[108:109], s[18:19], v[112:113]
	v_add_f64 v[154:155], v[192:193], v[154:155]
	v_fma_f64 v[192:193], v[100:101], s[24:25], v[114:115]
	v_fma_f64 v[114:115], v[100:101], s[38:39], v[114:115]
	v_add_f64 v[136:137], v[136:137], v[140:141]
	v_add_f64 v[82:83], v[84:85], v[82:83]
	;; [unrolled: 1-line block ×3, first 2 shown]
	v_fma_f64 v[80:81], v[126:127], s[0:1], -v[150:151]
	v_fma_f64 v[86:87], v[120:121], s[14:15], v[202:203]
	v_add_f64 v[152:153], v[192:193], v[152:153]
	v_mul_f64 v[192:193], v[134:135], s[20:21]
	v_add_f64 v[114:115], v[114:115], v[138:139]
	v_add_f64 v[80:81], v[80:81], v[82:83]
	;; [unrolled: 1-line block ×3, first 2 shown]
	s_delay_alu instid0(VALU_DEP_4) | instskip(SKIP_1) | instid1(VALU_DEP_2)
	v_fma_f64 v[134:135], v[116:117], s[8:9], v[192:193]
	v_fma_f64 v[138:139], v[116:117], s[8:9], -v[192:193]
	v_add_f64 v[134:135], v[134:135], v[154:155]
	v_fma_f64 v[154:155], v[108:109], s[36:37], v[118:119]
	v_fma_f64 v[118:119], v[108:109], s[20:21], v[118:119]
	s_delay_alu instid0(VALU_DEP_4) | instskip(NEXT) | instid1(VALU_DEP_3)
	v_add_f64 v[136:137], v[138:139], v[136:137]
	v_add_f64 v[152:153], v[154:155], v[152:153]
	v_mul_f64 v[154:155], v[132:133], s[12:13]
	v_fma_f64 v[132:133], v[126:127], s[12:13], v[122:123]
	v_add_f64 v[114:115], v[118:119], v[114:115]
	v_fma_f64 v[118:119], v[126:127], s[12:13], -v[122:123]
	s_delay_alu instid0(VALU_DEP_4) | instskip(NEXT) | instid1(VALU_DEP_4)
	v_fma_f64 v[122:123], v[120:121], s[30:31], v[154:155]
	v_add_f64 v[132:133], v[132:133], v[134:135]
	v_fma_f64 v[134:135], v[120:121], s[22:23], v[154:155]
	s_delay_alu instid0(VALU_DEP_4) | instskip(NEXT) | instid1(VALU_DEP_4)
	v_add_f64 v[136:137], v[118:119], v[136:137]
	v_add_f64 v[138:139], v[122:123], v[114:115]
	s_delay_alu instid0(VALU_DEP_3)
	v_add_f64 v[134:135], v[134:135], v[152:153]
	ds_store_b128 v170, v[72:75] offset:16
	ds_store_b128 v170, v[172:175] offset:32
	;; [unrolled: 1-line block ×6, first 2 shown]
	ds_store_b128 v170, v[76:79]
	ds_store_b128 v170, v[136:139] offset:112
	ds_store_b128 v170, v[156:159] offset:128
	;; [unrolled: 1-line block ×6, first 2 shown]
	s_and_saveexec_b32 s33, vcc_lo
	s_cbranch_execz .LBB0_13
; %bb.12:
	v_add_f64 v[72:73], v[26:27], v[30:31]
	v_add_f64 v[74:75], v[24:25], v[28:29]
	v_add_f64 v[84:85], v[40:41], -v[56:57]
	v_add_f64 v[88:89], v[42:43], v[58:59]
	v_add_f64 v[90:91], v[40:41], v[56:57]
	v_add_f64 v[86:87], v[42:43], -v[58:59]
	v_add_f64 v[92:93], v[36:37], -v[48:49]
	v_add_f64 v[94:95], v[38:39], v[50:51]
	v_add_f64 v[99:100], v[36:37], v[48:49]
	v_add_f64 v[101:102], v[38:39], -v[50:51]
	;; [unrolled: 4-line block ×3, first 2 shown]
	v_add_f64 v[72:73], v[72:73], v[34:35]
	v_add_f64 v[74:75], v[74:75], v[32:33]
	s_delay_alu instid0(VALU_DEP_2) | instskip(NEXT) | instid1(VALU_DEP_2)
	v_add_f64 v[72:73], v[72:73], v[38:39]
	v_add_f64 v[74:75], v[74:75], v[36:37]
	s_delay_alu instid0(VALU_DEP_2) | instskip(NEXT) | instid1(VALU_DEP_2)
	;; [unrolled: 3-line block ×4, first 2 shown]
	v_add_f64 v[76:77], v[72:73], v[62:63]
	v_add_f64 v[78:79], v[74:75], v[60:61]
	v_add_f64 v[74:75], v[60:61], -v[68:69]
	v_add_f64 v[72:73], v[62:63], v[70:71]
	v_add_f64 v[60:61], v[60:61], v[68:69]
	v_add_f64 v[62:63], v[62:63], -v[70:71]
	v_add_f64 v[76:77], v[76:77], v[70:71]
	v_add_f64 v[78:79], v[78:79], v[68:69]
	v_add_f64 v[70:71], v[52:53], -v[64:65]
	v_add_f64 v[68:69], v[54:55], v[66:67]
	v_add_f64 v[52:53], v[52:53], v[64:65]
	v_add_f64 v[54:55], v[54:55], -v[66:67]
	v_mul_f64 v[146:147], v[62:63], s[30:31]
	v_add_f64 v[66:67], v[76:77], v[66:67]
	v_add_f64 v[64:65], v[78:79], v[64:65]
	s_delay_alu instid0(VALU_DEP_2) | instskip(NEXT) | instid1(VALU_DEP_2)
	v_add_f64 v[40:41], v[66:67], v[58:59]
	v_add_f64 v[42:43], v[64:65], v[56:57]
	s_delay_alu instid0(VALU_DEP_2) | instskip(NEXT) | instid1(VALU_DEP_2)
	;; [unrolled: 3-line block ×3, first 2 shown]
	v_add_f64 v[32:33], v[36:37], v[46:47]
	v_add_f64 v[34:35], v[38:39], v[44:45]
	scratch_load_b128 v[44:47], off, off    ; 16-byte Folded Reload
	s_waitcnt vmcnt(0)
	v_add_f64 v[36:37], v[28:29], -v[44:45]
	v_add_f64 v[38:39], v[30:31], v[46:47]
	v_add_f64 v[40:41], v[28:29], v[44:45]
	v_add_f64 v[42:43], v[30:31], -v[46:47]
	v_add_f64 v[30:31], v[32:33], v[46:47]
	v_add_f64 v[28:29], v[34:35], v[44:45]
	v_mul_f64 v[32:33], v[36:37], s[14:15]
	v_mul_f64 v[34:35], v[36:37], s[18:19]
	;; [unrolled: 1-line block ×10, first 2 shown]
	v_fma_f64 v[50:51], v[38:39], s[0:1], v[32:33]
	v_fma_f64 v[32:33], v[38:39], s[0:1], -v[32:33]
	v_fma_f64 v[56:57], v[38:39], s[2:3], v[34:35]
	v_fma_f64 v[34:35], v[38:39], s[2:3], -v[34:35]
	;; [unrolled: 2-line block ×6, first 2 shown]
	v_mul_f64 v[38:39], v[42:43], s[14:15]
	v_mul_f64 v[42:43], v[42:43], s[42:43]
	v_fma_f64 v[115:116], v[40:41], s[2:3], -v[78:79]
	v_fma_f64 v[78:79], v[40:41], s[2:3], v[78:79]
	v_fma_f64 v[117:118], v[40:41], s[8:9], -v[80:81]
	v_fma_f64 v[80:81], v[40:41], s[8:9], v[80:81]
	;; [unrolled: 2-line block ×4, first 2 shown]
	v_add_f64 v[32:33], v[26:27], v[32:33]
	v_add_f64 v[56:57], v[26:27], v[56:57]
	;; [unrolled: 1-line block ×10, first 2 shown]
	v_fma_f64 v[113:114], v[40:41], s[0:1], -v[38:39]
	v_fma_f64 v[38:39], v[40:41], s[0:1], v[38:39]
	v_fma_f64 v[126:127], v[40:41], s[26:27], -v[42:43]
	v_fma_f64 v[40:41], v[40:41], s[26:27], v[42:43]
	v_add_f64 v[42:43], v[26:27], v[50:51]
	v_add_f64 v[78:79], v[24:25], v[78:79]
	v_add_f64 v[117:118], v[24:25], v[117:118]
	v_add_f64 v[80:81], v[24:25], v[80:81]
	v_add_f64 v[119:120], v[24:25], v[119:120]
	v_add_f64 v[82:83], v[24:25], v[82:83]
	v_add_f64 v[121:122], v[24:25], v[121:122]
	v_add_f64 v[111:112], v[24:25], v[111:112]
	v_mul_f64 v[36:37], v[109:110], s[28:29]
	v_mul_f64 v[76:77], v[74:75], s[30:31]
	v_add_f64 v[50:51], v[24:25], v[113:114]
	v_add_f64 v[113:114], v[24:25], v[115:116]
	;; [unrolled: 1-line block ×3, first 2 shown]
	v_mul_f64 v[34:35], v[103:104], s[28:29]
	v_add_f64 v[38:39], v[24:25], v[38:39]
	v_add_f64 v[126:127], v[24:25], v[126:127]
	;; [unrolled: 1-line block ×3, first 2 shown]
	v_mul_f64 v[40:41], v[92:93], s[18:19]
	v_fma_f64 v[26:27], v[107:108], s[26:27], -v[36:37]
	v_fma_f64 v[24:25], v[105:106], s[26:27], v[34:35]
	v_fma_f64 v[34:35], v[105:106], s[26:27], -v[34:35]
	s_delay_alu instid0(VALU_DEP_3) | instskip(NEXT) | instid1(VALU_DEP_3)
	v_add_f64 v[26:27], v[26:27], v[50:51]
	v_add_f64 v[24:25], v[24:25], v[42:43]
	v_fma_f64 v[42:43], v[94:95], s[2:3], v[40:41]
	s_delay_alu instid0(VALU_DEP_4)
	v_add_f64 v[32:33], v[34:35], v[32:33]
	v_fma_f64 v[34:35], v[107:108], s[26:27], v[36:37]
	v_fma_f64 v[36:37], v[94:95], s[2:3], -v[40:41]
	v_mul_f64 v[40:41], v[103:104], s[30:31]
	v_add_f64 v[24:25], v[42:43], v[24:25]
	v_mul_f64 v[42:43], v[101:102], s[18:19]
	v_add_f64 v[34:35], v[34:35], v[38:39]
	v_add_f64 v[32:33], v[36:37], v[32:33]
	v_fma_f64 v[38:39], v[60:61], s[12:13], v[146:147]
	s_delay_alu instid0(VALU_DEP_4) | instskip(SKIP_2) | instid1(VALU_DEP_3)
	v_fma_f64 v[44:45], v[99:100], s[2:3], -v[42:43]
	v_fma_f64 v[36:37], v[99:100], s[2:3], v[42:43]
	v_mul_f64 v[42:43], v[109:110], s[30:31]
	v_add_f64 v[26:27], v[44:45], v[26:27]
	v_mul_f64 v[44:45], v[84:85], s[38:39]
	s_delay_alu instid0(VALU_DEP_4) | instskip(NEXT) | instid1(VALU_DEP_2)
	v_add_f64 v[34:35], v[36:37], v[34:35]
	v_fma_f64 v[46:47], v[88:89], s[16:17], v[44:45]
	v_fma_f64 v[36:37], v[88:89], s[16:17], -v[44:45]
	v_mul_f64 v[44:45], v[92:93], s[24:25]
	s_delay_alu instid0(VALU_DEP_3) | instskip(SKIP_1) | instid1(VALU_DEP_4)
	v_add_f64 v[24:25], v[46:47], v[24:25]
	v_mul_f64 v[46:47], v[86:87], s[38:39]
	v_add_f64 v[32:33], v[36:37], v[32:33]
	s_delay_alu instid0(VALU_DEP_2) | instskip(SKIP_3) | instid1(VALU_DEP_4)
	v_fma_f64 v[48:49], v[90:91], s[16:17], -v[46:47]
	v_fma_f64 v[36:37], v[90:91], s[16:17], v[46:47]
	v_fma_f64 v[46:47], v[94:95], s[16:17], v[44:45]
	v_fma_f64 v[44:45], v[94:95], s[16:17], -v[44:45]
	v_add_f64 v[26:27], v[48:49], v[26:27]
	v_mul_f64 v[48:49], v[70:71], s[20:21]
	v_add_f64 v[34:35], v[36:37], v[34:35]
	s_delay_alu instid0(VALU_DEP_2) | instskip(SKIP_1) | instid1(VALU_DEP_2)
	v_fma_f64 v[50:51], v[68:69], s[8:9], v[48:49]
	v_fma_f64 v[36:37], v[68:69], s[8:9], -v[48:49]
	v_add_f64 v[24:25], v[50:51], v[24:25]
	v_mul_f64 v[50:51], v[54:55], s[20:21]
	s_delay_alu instid0(VALU_DEP_3) | instskip(NEXT) | instid1(VALU_DEP_2)
	v_add_f64 v[32:33], v[36:37], v[32:33]
	v_fma_f64 v[36:37], v[52:53], s[8:9], v[50:51]
	v_fma_f64 v[66:67], v[52:53], s[8:9], -v[50:51]
	s_delay_alu instid0(VALU_DEP_2) | instskip(SKIP_1) | instid1(VALU_DEP_3)
	v_add_f64 v[36:37], v[36:37], v[34:35]
	v_fma_f64 v[34:35], v[72:73], s[12:13], -v[76:77]
	v_add_f64 v[66:67], v[66:67], v[26:27]
	v_fma_f64 v[26:27], v[72:73], s[12:13], v[76:77]
	s_delay_alu instid0(VALU_DEP_3)
	v_add_f64 v[34:35], v[34:35], v[32:33]
	v_add_f64 v[32:33], v[38:39], v[36:37]
	v_fma_f64 v[36:37], v[105:106], s[12:13], v[40:41]
	v_fma_f64 v[38:39], v[107:108], s[12:13], -v[42:43]
	v_fma_f64 v[40:41], v[105:106], s[12:13], -v[40:41]
	v_fma_f64 v[42:43], v[107:108], s[12:13], v[42:43]
	v_add_f64 v[26:27], v[26:27], v[24:25]
	v_fma_f64 v[24:25], v[60:61], s[12:13], -v[146:147]
	v_mul_f64 v[146:147], v[62:63], s[20:21]
	v_add_f64 v[36:37], v[36:37], v[56:57]
	v_add_f64 v[38:39], v[38:39], v[113:114]
	v_add_f64 v[40:41], v[40:41], v[115:116]
	v_add_f64 v[42:43], v[42:43], v[78:79]
	v_mul_f64 v[113:114], v[74:75], s[20:21]
	v_add_f64 v[24:25], v[24:25], v[66:67]
	v_add_f64 v[36:37], v[46:47], v[36:37]
	v_mul_f64 v[46:47], v[101:102], s[24:25]
	v_add_f64 v[40:41], v[44:45], v[40:41]
	s_delay_alu instid0(VALU_DEP_2) | instskip(SKIP_2) | instid1(VALU_DEP_3)
	v_fma_f64 v[48:49], v[99:100], s[16:17], -v[46:47]
	v_fma_f64 v[44:45], v[99:100], s[16:17], v[46:47]
	v_fma_f64 v[46:47], v[60:61], s[8:9], v[146:147]
	v_add_f64 v[38:39], v[48:49], v[38:39]
	v_mul_f64 v[48:49], v[84:85], s[40:41]
	s_delay_alu instid0(VALU_DEP_4) | instskip(NEXT) | instid1(VALU_DEP_2)
	v_add_f64 v[42:43], v[44:45], v[42:43]
	v_fma_f64 v[50:51], v[88:89], s[0:1], v[48:49]
	v_fma_f64 v[44:45], v[88:89], s[0:1], -v[48:49]
	v_mul_f64 v[48:49], v[103:104], s[34:35]
	s_delay_alu instid0(VALU_DEP_3) | instskip(SKIP_1) | instid1(VALU_DEP_4)
	v_add_f64 v[36:37], v[50:51], v[36:37]
	v_mul_f64 v[50:51], v[86:87], s[40:41]
	v_add_f64 v[40:41], v[44:45], v[40:41]
	s_delay_alu instid0(VALU_DEP_2) | instskip(SKIP_2) | instid1(VALU_DEP_3)
	v_fma_f64 v[56:57], v[90:91], s[0:1], -v[50:51]
	v_fma_f64 v[44:45], v[90:91], s[0:1], v[50:51]
	v_mul_f64 v[50:51], v[109:110], s[34:35]
	v_add_f64 v[38:39], v[56:57], v[38:39]
	v_mul_f64 v[56:57], v[70:71], s[28:29]
	s_delay_alu instid0(VALU_DEP_4) | instskip(NEXT) | instid1(VALU_DEP_2)
	v_add_f64 v[42:43], v[44:45], v[42:43]
	v_fma_f64 v[66:67], v[68:69], s[26:27], v[56:57]
	v_fma_f64 v[44:45], v[68:69], s[26:27], -v[56:57]
	v_mul_f64 v[56:57], v[92:93], s[28:29]
	s_delay_alu instid0(VALU_DEP_3) | instskip(SKIP_1) | instid1(VALU_DEP_4)
	v_add_f64 v[36:37], v[66:67], v[36:37]
	v_mul_f64 v[66:67], v[54:55], s[28:29]
	v_add_f64 v[40:41], v[44:45], v[40:41]
	s_delay_alu instid0(VALU_DEP_2) | instskip(SKIP_1) | instid1(VALU_DEP_2)
	v_fma_f64 v[44:45], v[52:53], s[26:27], v[66:67]
	v_fma_f64 v[76:77], v[52:53], s[26:27], -v[66:67]
	v_add_f64 v[44:45], v[44:45], v[42:43]
	v_fma_f64 v[42:43], v[72:73], s[8:9], -v[113:114]
	s_delay_alu instid0(VALU_DEP_3) | instskip(SKIP_1) | instid1(VALU_DEP_3)
	v_add_f64 v[76:77], v[76:77], v[38:39]
	v_fma_f64 v[38:39], v[72:73], s[8:9], v[113:114]
	v_add_f64 v[42:43], v[42:43], v[40:41]
	v_add_f64 v[40:41], v[46:47], v[44:45]
	v_fma_f64 v[44:45], v[105:106], s[2:3], v[48:49]
	v_fma_f64 v[46:47], v[107:108], s[2:3], -v[50:51]
	v_add_f64 v[38:39], v[38:39], v[36:37]
	v_fma_f64 v[36:37], v[60:61], s[8:9], -v[146:147]
	v_fma_f64 v[48:49], v[105:106], s[2:3], -v[48:49]
	v_fma_f64 v[50:51], v[107:108], s[2:3], v[50:51]
	v_mul_f64 v[146:147], v[62:63], s[38:39]
	v_add_f64 v[44:45], v[44:45], v[58:59]
	v_fma_f64 v[58:59], v[94:95], s[26:27], v[56:57]
	v_add_f64 v[46:47], v[46:47], v[117:118]
	v_add_f64 v[36:37], v[36:37], v[76:77]
	;; [unrolled: 1-line block ×3, first 2 shown]
	v_fma_f64 v[56:57], v[94:95], s[26:27], -v[56:57]
	v_add_f64 v[50:51], v[50:51], v[80:81]
	v_mul_f64 v[117:118], v[74:75], s[38:39]
	v_mul_f64 v[132:133], v[74:75], s[18:19]
	v_add_f64 v[44:45], v[58:59], v[44:45]
	v_mul_f64 v[58:59], v[101:102], s[28:29]
	v_add_f64 v[48:49], v[56:57], v[48:49]
	s_delay_alu instid0(VALU_DEP_2) | instskip(SKIP_2) | instid1(VALU_DEP_3)
	v_fma_f64 v[66:67], v[99:100], s[26:27], -v[58:59]
	v_fma_f64 v[56:57], v[99:100], s[26:27], v[58:59]
	v_fma_f64 v[58:59], v[60:61], s[16:17], v[146:147]
	v_add_f64 v[46:47], v[66:67], v[46:47]
	v_mul_f64 v[66:67], v[84:85], s[22:23]
	s_delay_alu instid0(VALU_DEP_4) | instskip(NEXT) | instid1(VALU_DEP_2)
	v_add_f64 v[50:51], v[56:57], v[50:51]
	v_fma_f64 v[76:77], v[88:89], s[12:13], v[66:67]
	v_fma_f64 v[56:57], v[88:89], s[12:13], -v[66:67]
	v_mul_f64 v[66:67], v[103:104], s[14:15]
	s_delay_alu instid0(VALU_DEP_3) | instskip(SKIP_1) | instid1(VALU_DEP_4)
	v_add_f64 v[44:45], v[76:77], v[44:45]
	v_mul_f64 v[76:77], v[86:87], s[22:23]
	v_add_f64 v[48:49], v[56:57], v[48:49]
	s_delay_alu instid0(VALU_DEP_2) | instskip(SKIP_2) | instid1(VALU_DEP_3)
	v_fma_f64 v[78:79], v[90:91], s[12:13], -v[76:77]
	v_fma_f64 v[56:57], v[90:91], s[12:13], v[76:77]
	v_mul_f64 v[76:77], v[92:93], s[36:37]
	v_add_f64 v[46:47], v[78:79], v[46:47]
	v_mul_f64 v[78:79], v[70:71], s[40:41]
	s_delay_alu instid0(VALU_DEP_4) | instskip(NEXT) | instid1(VALU_DEP_2)
	v_add_f64 v[50:51], v[56:57], v[50:51]
	v_fma_f64 v[113:114], v[68:69], s[0:1], v[78:79]
	v_fma_f64 v[56:57], v[68:69], s[0:1], -v[78:79]
	v_fma_f64 v[78:79], v[94:95], s[8:9], v[76:77]
	v_fma_f64 v[76:77], v[94:95], s[8:9], -v[76:77]
	s_delay_alu instid0(VALU_DEP_4) | instskip(SKIP_2) | instid1(VALU_DEP_2)
	v_add_f64 v[44:45], v[113:114], v[44:45]
	v_mul_f64 v[113:114], v[54:55], s[40:41]
	v_add_f64 v[48:49], v[56:57], v[48:49]
	v_fma_f64 v[56:57], v[52:53], s[0:1], v[113:114]
	v_fma_f64 v[115:116], v[52:53], s[0:1], -v[113:114]
	s_delay_alu instid0(VALU_DEP_2) | instskip(SKIP_1) | instid1(VALU_DEP_3)
	v_add_f64 v[56:57], v[56:57], v[50:51]
	v_fma_f64 v[50:51], v[72:73], s[16:17], -v[117:118]
	v_add_f64 v[115:116], v[115:116], v[46:47]
	v_fma_f64 v[46:47], v[72:73], s[16:17], v[117:118]
	s_delay_alu instid0(VALU_DEP_3)
	v_add_f64 v[50:51], v[50:51], v[48:49]
	v_add_f64 v[48:49], v[58:59], v[56:57]
	v_fma_f64 v[56:57], v[105:106], s[0:1], v[66:67]
	v_fma_f64 v[66:67], v[105:106], s[0:1], -v[66:67]
	v_add_f64 v[46:47], v[46:47], v[44:45]
	v_fma_f64 v[44:45], v[60:61], s[16:17], -v[146:147]
	v_mul_f64 v[146:147], v[62:63], s[18:19]
	v_add_f64 v[56:57], v[56:57], v[64:65]
	v_mul_f64 v[64:65], v[109:110], s[14:15]
	v_add_f64 v[66:67], v[66:67], v[134:135]
	v_add_f64 v[44:45], v[44:45], v[115:116]
	s_delay_alu instid0(VALU_DEP_4) | instskip(NEXT) | instid1(VALU_DEP_4)
	v_add_f64 v[56:57], v[78:79], v[56:57]
	v_fma_f64 v[58:59], v[107:108], s[0:1], -v[64:65]
	v_mul_f64 v[78:79], v[101:102], s[36:37]
	v_fma_f64 v[64:65], v[107:108], s[0:1], v[64:65]
	v_add_f64 v[66:67], v[76:77], v[66:67]
	s_delay_alu instid0(VALU_DEP_4) | instskip(NEXT) | instid1(VALU_DEP_4)
	v_add_f64 v[58:59], v[58:59], v[119:120]
	v_fma_f64 v[80:81], v[99:100], s[8:9], -v[78:79]
	s_delay_alu instid0(VALU_DEP_4)
	v_add_f64 v[64:65], v[64:65], v[82:83]
	v_fma_f64 v[76:77], v[99:100], s[8:9], v[78:79]
	v_fma_f64 v[78:79], v[60:61], s[2:3], v[146:147]
	v_mul_f64 v[82:83], v[109:110], s[20:21]
	v_mul_f64 v[109:110], v[109:110], s[24:25]
	v_add_f64 v[58:59], v[80:81], v[58:59]
	v_mul_f64 v[80:81], v[84:85], s[28:29]
	v_add_f64 v[64:65], v[76:77], v[64:65]
	s_delay_alu instid0(VALU_DEP_2) | instskip(SKIP_3) | instid1(VALU_DEP_4)
	v_fma_f64 v[113:114], v[88:89], s[26:27], v[80:81]
	v_fma_f64 v[76:77], v[88:89], s[26:27], -v[80:81]
	v_mul_f64 v[80:81], v[103:104], s[20:21]
	v_mul_f64 v[103:104], v[103:104], s[24:25]
	v_add_f64 v[56:57], v[113:114], v[56:57]
	v_mul_f64 v[113:114], v[86:87], s[28:29]
	v_add_f64 v[66:67], v[76:77], v[66:67]
	s_delay_alu instid0(VALU_DEP_2) | instskip(SKIP_3) | instid1(VALU_DEP_4)
	v_fma_f64 v[115:116], v[90:91], s[26:27], -v[113:114]
	v_fma_f64 v[76:77], v[90:91], s[26:27], v[113:114]
	v_mul_f64 v[113:114], v[92:93], s[14:15]
	v_mul_f64 v[92:93], v[92:93], s[22:23]
	v_add_f64 v[58:59], v[115:116], v[58:59]
	v_mul_f64 v[115:116], v[70:71], s[24:25]
	v_add_f64 v[64:65], v[76:77], v[64:65]
	s_delay_alu instid0(VALU_DEP_2) | instskip(SKIP_2) | instid1(VALU_DEP_3)
	v_fma_f64 v[117:118], v[68:69], s[16:17], v[115:116]
	v_fma_f64 v[76:77], v[68:69], s[16:17], -v[115:116]
	v_fma_f64 v[115:116], v[94:95], s[0:1], v[113:114]
	v_add_f64 v[56:57], v[117:118], v[56:57]
	v_mul_f64 v[117:118], v[54:55], s[24:25]
	s_delay_alu instid0(VALU_DEP_4) | instskip(NEXT) | instid1(VALU_DEP_2)
	v_add_f64 v[66:67], v[76:77], v[66:67]
	v_fma_f64 v[76:77], v[52:53], s[16:17], v[117:118]
	v_fma_f64 v[119:120], v[52:53], s[16:17], -v[117:118]
	s_delay_alu instid0(VALU_DEP_2) | instskip(SKIP_1) | instid1(VALU_DEP_3)
	v_add_f64 v[64:65], v[76:77], v[64:65]
	v_fma_f64 v[76:77], v[72:73], s[2:3], -v[132:133]
	v_add_f64 v[119:120], v[119:120], v[58:59]
	v_fma_f64 v[58:59], v[72:73], s[2:3], v[132:133]
	s_delay_alu instid0(VALU_DEP_4) | instskip(NEXT) | instid1(VALU_DEP_4)
	v_add_f64 v[64:65], v[78:79], v[64:65]
	v_add_f64 v[66:67], v[76:77], v[66:67]
	v_fma_f64 v[76:77], v[105:106], s[8:9], v[80:81]
	v_fma_f64 v[78:79], v[107:108], s[8:9], -v[82:83]
	v_add_f64 v[58:59], v[58:59], v[56:57]
	v_fma_f64 v[56:57], v[60:61], s[2:3], -v[146:147]
	v_fma_f64 v[80:81], v[105:106], s[8:9], -v[80:81]
	v_fma_f64 v[82:83], v[107:108], s[8:9], v[82:83]
	v_mul_f64 v[146:147], v[62:63], s[28:29]
	v_mul_f64 v[62:63], v[62:63], s[14:15]
	v_add_f64 v[76:77], v[76:77], v[136:137]
	v_add_f64 v[78:79], v[78:79], v[121:122]
	v_mul_f64 v[136:137], v[74:75], s[28:29]
	v_add_f64 v[56:57], v[56:57], v[119:120]
	v_add_f64 v[80:81], v[80:81], v[138:139]
	;; [unrolled: 1-line block ×3, first 2 shown]
	v_fma_f64 v[111:112], v[94:95], s[0:1], -v[113:114]
	v_fma_f64 v[113:114], v[60:61], s[26:27], v[146:147]
	v_mul_f64 v[74:75], v[74:75], s[14:15]
	v_add_f64 v[76:77], v[115:116], v[76:77]
	v_mul_f64 v[115:116], v[101:102], s[14:15]
	v_mul_f64 v[101:102], v[101:102], s[22:23]
	v_add_f64 v[80:81], v[111:112], v[80:81]
	s_delay_alu instid0(VALU_DEP_3)
	v_fma_f64 v[117:118], v[99:100], s[0:1], -v[115:116]
	v_fma_f64 v[111:112], v[99:100], s[0:1], v[115:116]
	v_fma_f64 v[115:116], v[94:95], s[12:13], -v[92:93]
	v_fma_f64 v[92:93], v[94:95], s[12:13], v[92:93]
	v_fma_f64 v[94:95], v[99:100], s[12:13], -v[101:102]
	v_add_f64 v[78:79], v[117:118], v[78:79]
	v_mul_f64 v[117:118], v[84:85], s[34:35]
	v_add_f64 v[82:83], v[111:112], v[82:83]
	s_delay_alu instid0(VALU_DEP_2) | instskip(SKIP_1) | instid1(VALU_DEP_2)
	v_fma_f64 v[119:120], v[88:89], s[2:3], v[117:118]
	v_fma_f64 v[111:112], v[88:89], s[2:3], -v[117:118]
	v_add_f64 v[76:77], v[119:120], v[76:77]
	v_mul_f64 v[119:120], v[86:87], s[34:35]
	s_delay_alu instid0(VALU_DEP_3) | instskip(NEXT) | instid1(VALU_DEP_2)
	v_add_f64 v[80:81], v[111:112], v[80:81]
	v_fma_f64 v[121:122], v[90:91], s[2:3], -v[119:120]
	v_fma_f64 v[111:112], v[90:91], s[2:3], v[119:120]
	s_delay_alu instid0(VALU_DEP_2) | instskip(SKIP_1) | instid1(VALU_DEP_3)
	v_add_f64 v[78:79], v[121:122], v[78:79]
	v_mul_f64 v[121:122], v[70:71], s[30:31]
	v_add_f64 v[82:83], v[111:112], v[82:83]
	v_mul_f64 v[70:71], v[70:71], s[18:19]
	s_delay_alu instid0(VALU_DEP_3) | instskip(SKIP_1) | instid1(VALU_DEP_2)
	v_fma_f64 v[132:133], v[68:69], s[12:13], v[121:122]
	v_fma_f64 v[111:112], v[68:69], s[12:13], -v[121:122]
	v_add_f64 v[76:77], v[132:133], v[76:77]
	v_mul_f64 v[132:133], v[54:55], s[30:31]
	s_delay_alu instid0(VALU_DEP_3) | instskip(SKIP_1) | instid1(VALU_DEP_3)
	v_add_f64 v[80:81], v[111:112], v[80:81]
	v_mul_f64 v[54:55], v[54:55], s[18:19]
	v_fma_f64 v[111:112], v[52:53], s[12:13], v[132:133]
	v_fma_f64 v[134:135], v[52:53], s[12:13], -v[132:133]
	s_delay_alu instid0(VALU_DEP_2) | instskip(SKIP_1) | instid1(VALU_DEP_3)
	v_add_f64 v[111:112], v[111:112], v[82:83]
	v_fma_f64 v[82:83], v[72:73], s[26:27], -v[136:137]
	v_add_f64 v[134:135], v[134:135], v[78:79]
	v_fma_f64 v[78:79], v[72:73], s[26:27], v[136:137]
	s_delay_alu instid0(VALU_DEP_3)
	v_add_f64 v[82:83], v[82:83], v[80:81]
	v_add_f64 v[80:81], v[113:114], v[111:112]
	v_fma_f64 v[111:112], v[105:106], s[16:17], -v[103:104]
	v_fma_f64 v[113:114], v[107:108], s[16:17], v[109:110]
	v_fma_f64 v[103:104], v[105:106], s[16:17], v[103:104]
	v_fma_f64 v[105:106], v[107:108], s[16:17], -v[109:110]
	v_add_f64 v[78:79], v[78:79], v[76:77]
	v_fma_f64 v[76:77], v[60:61], s[26:27], -v[146:147]
	v_add_f64 v[111:112], v[111:112], v[142:143]
	v_add_f64 v[113:114], v[113:114], v[144:145]
	s_delay_alu instid0(VALU_DEP_3) | instskip(NEXT) | instid1(VALU_DEP_3)
	v_add_f64 v[76:77], v[76:77], v[134:135]
	v_add_f64 v[111:112], v[115:116], v[111:112]
	v_fma_f64 v[115:116], v[99:100], s[12:13], v[101:102]
	v_add_f64 v[101:102], v[105:106], v[126:127]
	v_add_f64 v[99:100], v[103:104], v[140:141]
	s_delay_alu instid0(VALU_DEP_3) | instskip(SKIP_1) | instid1(VALU_DEP_4)
	v_add_f64 v[113:114], v[115:116], v[113:114]
	v_mul_f64 v[115:116], v[84:85], s[20:21]
	v_add_f64 v[94:95], v[94:95], v[101:102]
	s_delay_alu instid0(VALU_DEP_4) | instskip(NEXT) | instid1(VALU_DEP_3)
	v_add_f64 v[92:93], v[92:93], v[99:100]
	v_fma_f64 v[84:85], v[88:89], s[8:9], -v[115:116]
	v_fma_f64 v[88:89], v[88:89], s[8:9], v[115:116]
	s_delay_alu instid0(VALU_DEP_2) | instskip(SKIP_1) | instid1(VALU_DEP_1)
	v_add_f64 v[84:85], v[84:85], v[111:112]
	v_mul_f64 v[111:112], v[86:87], s[20:21]
	v_fma_f64 v[86:87], v[90:91], s[8:9], v[111:112]
	v_fma_f64 v[90:91], v[90:91], s[8:9], -v[111:112]
	s_delay_alu instid0(VALU_DEP_2) | instskip(SKIP_2) | instid1(VALU_DEP_4)
	v_add_f64 v[86:87], v[86:87], v[113:114]
	v_fma_f64 v[113:114], v[68:69], s[2:3], -v[70:71]
	v_fma_f64 v[68:69], v[68:69], s[2:3], v[70:71]
	v_add_f64 v[70:71], v[90:91], v[94:95]
	s_delay_alu instid0(VALU_DEP_3) | instskip(SKIP_3) | instid1(VALU_DEP_3)
	v_add_f64 v[84:85], v[113:114], v[84:85]
	v_fma_f64 v[113:114], v[52:53], s[2:3], v[54:55]
	v_fma_f64 v[52:53], v[52:53], s[2:3], -v[54:55]
	v_add_f64 v[54:55], v[88:89], v[92:93]
	v_add_f64 v[113:114], v[113:114], v[86:87]
	v_fma_f64 v[86:87], v[72:73], s[0:1], -v[74:75]
	s_delay_alu instid0(VALU_DEP_4) | instskip(SKIP_2) | instid1(VALU_DEP_4)
	v_add_f64 v[52:53], v[52:53], v[70:71]
	v_fma_f64 v[72:73], v[72:73], s[0:1], v[74:75]
	v_add_f64 v[54:55], v[68:69], v[54:55]
	v_add_f64 v[86:87], v[86:87], v[84:85]
	v_fma_f64 v[84:85], v[60:61], s[0:1], v[62:63]
	v_fma_f64 v[60:61], v[60:61], s[0:1], -v[62:63]
	s_delay_alu instid0(VALU_DEP_4) | instskip(NEXT) | instid1(VALU_DEP_3)
	v_add_f64 v[54:55], v[72:73], v[54:55]
	v_add_f64 v[84:85], v[84:85], v[113:114]
	s_delay_alu instid0(VALU_DEP_3)
	v_add_f64 v[52:53], v[60:61], v[52:53]
	s_clause 0x1
	scratch_load_b32 v60, off, off offset:928
	scratch_load_b32 v61, off, off offset:932
	s_waitcnt vmcnt(0)
	v_lshl_add_u32 v60, v61, 4, v60
	ds_store_b128 v60, v[84:87] offset:16
	ds_store_b128 v60, v[80:83] offset:32
	;; [unrolled: 1-line block ×11, first 2 shown]
	ds_store_b128 v60, v[28:31]
	ds_store_b128 v60, v[52:55] offset:192
.LBB0_13:
	s_or_b32 exec_lo, exec_lo, s33
	s_waitcnt lgkmcnt(0)
	s_barrier
	buffer_gl0_inv
	s_clause 0x1
	scratch_load_b128 v[30:33], off, off offset:292
	scratch_load_b128 v[34:37], off, off offset:324
	ds_load_b128 v[24:27], v168 offset:5200
	s_mov_b32 s8, 0x134454ff
	s_mov_b32 s9, 0xbfee6f0e
	s_mov_b32 s13, 0x3fee6f0e
	s_mov_b32 s12, s8
	s_mov_b32 s0, 0x4755a5e
	s_mov_b32 s1, 0xbfe2cf23
	s_mov_b32 s3, 0x3fe2cf23
	s_mov_b32 s2, s0
	s_mov_b32 s14, 0x372fe950
	s_mov_b32 s15, 0x3fd3c6ef
	s_clause 0x2
	scratch_load_b128 v[44:47], off, off offset:660
	scratch_load_b128 v[38:41], off, off offset:548
	;; [unrolled: 1-line block ×3, first 2 shown]
	s_waitcnt vmcnt(4) lgkmcnt(0)
	v_mul_f64 v[28:29], v[32:33], v[26:27]
	s_delay_alu instid0(VALU_DEP_1) | instskip(SKIP_1) | instid1(VALU_DEP_1)
	v_fma_f64 v[28:29], v[30:31], v[24:25], v[28:29]
	v_mul_f64 v[24:25], v[32:33], v[24:25]
	v_fma_f64 v[30:31], v[30:31], v[26:27], -v[24:25]
	ds_load_b128 v[24:27], v168 offset:10400
	s_waitcnt vmcnt(3) lgkmcnt(0)
	v_mul_f64 v[32:33], v[36:37], v[26:27]
	s_delay_alu instid0(VALU_DEP_1) | instskip(SKIP_1) | instid1(VALU_DEP_1)
	v_fma_f64 v[107:108], v[34:35], v[24:25], v[32:33]
	v_mul_f64 v[24:25], v[36:37], v[24:25]
	v_fma_f64 v[109:110], v[34:35], v[26:27], -v[24:25]
	scratch_load_b128 v[34:37], off, off offset:308 ; 16-byte Folded Reload
	ds_load_b128 v[24:27], v168 offset:15600
	s_waitcnt vmcnt(0) lgkmcnt(0)
	v_mul_f64 v[32:33], v[36:37], v[26:27]
	s_delay_alu instid0(VALU_DEP_1) | instskip(SKIP_1) | instid1(VALU_DEP_2)
	v_fma_f64 v[111:112], v[34:35], v[24:25], v[32:33]
	v_mul_f64 v[24:25], v[36:37], v[24:25]
	v_add_f64 v[134:135], v[107:108], -v[111:112]
	s_delay_alu instid0(VALU_DEP_2)
	v_fma_f64 v[113:114], v[34:35], v[26:27], -v[24:25]
	scratch_load_b128 v[34:37], off, off offset:356 ; 16-byte Folded Reload
	ds_load_b128 v[24:27], v168 offset:20800
	v_add_f64 v[126:127], v[109:110], -v[113:114]
	s_waitcnt vmcnt(0) lgkmcnt(0)
	v_mul_f64 v[32:33], v[36:37], v[26:27]
	s_delay_alu instid0(VALU_DEP_1) | instskip(SKIP_1) | instid1(VALU_DEP_2)
	v_fma_f64 v[115:116], v[34:35], v[24:25], v[32:33]
	v_mul_f64 v[24:25], v[36:37], v[24:25]
	v_add_f64 v[136:137], v[28:29], -v[115:116]
	s_delay_alu instid0(VALU_DEP_2)
	v_fma_f64 v[117:118], v[34:35], v[26:27], -v[24:25]
	scratch_load_b128 v[34:37], off, off offset:276 ; 16-byte Folded Reload
	ds_load_b128 v[24:27], v168 offset:6240
	v_add_f64 v[132:133], v[30:31], -v[117:118]
	s_waitcnt vmcnt(0) lgkmcnt(0)
	v_mul_f64 v[32:33], v[36:37], v[26:27]
	s_delay_alu instid0(VALU_DEP_1) | instskip(SKIP_1) | instid1(VALU_DEP_1)
	v_fma_f64 v[82:83], v[34:35], v[24:25], v[32:33]
	v_mul_f64 v[24:25], v[36:37], v[24:25]
	v_fma_f64 v[80:81], v[34:35], v[26:27], -v[24:25]
	scratch_load_b128 v[34:37], off, off offset:340 ; 16-byte Folded Reload
	ds_load_b128 v[24:27], v168 offset:11440
	s_waitcnt vmcnt(0) lgkmcnt(0)
	v_mul_f64 v[32:33], v[36:37], v[26:27]
	s_delay_alu instid0(VALU_DEP_1) | instskip(SKIP_1) | instid1(VALU_DEP_1)
	v_fma_f64 v[84:85], v[34:35], v[24:25], v[32:33]
	v_mul_f64 v[24:25], v[36:37], v[24:25]
	v_fma_f64 v[86:87], v[34:35], v[26:27], -v[24:25]
	scratch_load_b128 v[34:37], off, off offset:372 ; 16-byte Folded Reload
	ds_load_b128 v[24:27], v168 offset:16640
	;; [unrolled: 8-line block ×11, first 2 shown]
	s_waitcnt vmcnt(0) lgkmcnt(0)
	v_mul_f64 v[32:33], v[36:37], v[26:27]
	s_delay_alu instid0(VALU_DEP_1) | instskip(SKIP_1) | instid1(VALU_DEP_1)
	v_fma_f64 v[60:61], v[34:35], v[24:25], v[32:33]
	v_mul_f64 v[24:25], v[36:37], v[24:25]
	v_fma_f64 v[62:63], v[34:35], v[26:27], -v[24:25]
	ds_load_b128 v[24:27], v168 offset:9360
	s_waitcnt lgkmcnt(0)
	v_mul_f64 v[32:33], v[40:41], v[26:27]
	s_delay_alu instid0(VALU_DEP_1) | instskip(SKIP_1) | instid1(VALU_DEP_1)
	v_fma_f64 v[36:37], v[38:39], v[24:25], v[32:33]
	v_mul_f64 v[24:25], v[40:41], v[24:25]
	v_fma_f64 v[32:33], v[38:39], v[26:27], -v[24:25]
	scratch_load_b128 v[38:41], off, off offset:564 ; 16-byte Folded Reload
	ds_load_b128 v[24:27], v168 offset:14560
	s_waitcnt vmcnt(0) lgkmcnt(0)
	v_mul_f64 v[34:35], v[40:41], v[26:27]
	s_delay_alu instid0(VALU_DEP_1) | instskip(SKIP_1) | instid1(VALU_DEP_1)
	v_fma_f64 v[42:43], v[38:39], v[24:25], v[34:35]
	v_mul_f64 v[24:25], v[40:41], v[24:25]
	v_fma_f64 v[34:35], v[38:39], v[26:27], -v[24:25]
	ds_load_b128 v[24:27], v168 offset:19760
	s_waitcnt lgkmcnt(0)
	v_mul_f64 v[38:39], v[46:47], v[26:27]
	s_delay_alu instid0(VALU_DEP_1) | instskip(SKIP_1) | instid1(VALU_DEP_1)
	v_fma_f64 v[40:41], v[44:45], v[24:25], v[38:39]
	v_mul_f64 v[24:25], v[46:47], v[24:25]
	v_fma_f64 v[38:39], v[44:45], v[26:27], -v[24:25]
	ds_load_b128 v[24:27], v168 offset:24960
	s_waitcnt lgkmcnt(0)
	v_mul_f64 v[44:45], v[101:102], v[26:27]
	s_delay_alu instid0(VALU_DEP_1) | instskip(SKIP_1) | instid1(VALU_DEP_1)
	v_fma_f64 v[46:47], v[99:100], v[24:25], v[44:45]
	v_mul_f64 v[24:25], v[101:102], v[24:25]
	v_fma_f64 v[44:45], v[99:100], v[26:27], -v[24:25]
	v_add_f64 v[24:25], v[107:108], -v[28:29]
	v_add_f64 v[26:27], v[111:112], -v[115:116]
	v_add_f64 v[99:100], v[28:29], v[115:116]
	s_delay_alu instid0(VALU_DEP_2) | instskip(SKIP_2) | instid1(VALU_DEP_1)
	v_add_f64 v[103:104], v[24:25], v[26:27]
	v_add_f64 v[24:25], v[109:110], -v[30:31]
	v_add_f64 v[26:27], v[113:114], -v[117:118]
	v_add_f64 v[105:106], v[24:25], v[26:27]
	ds_load_b128 v[24:27], v168
	s_waitcnt lgkmcnt(0)
	v_fma_f64 v[119:120], v[99:100], -0.5, v[24:25]
	v_add_f64 v[99:100], v[30:31], v[117:118]
	s_delay_alu instid0(VALU_DEP_1) | instskip(NEXT) | instid1(VALU_DEP_3)
	v_fma_f64 v[121:122], v[99:100], -0.5, v[26:27]
	v_fma_f64 v[99:100], v[126:127], s[12:13], v[119:120]
	v_fma_f64 v[119:120], v[126:127], s[8:9], v[119:120]
	s_delay_alu instid0(VALU_DEP_3) | instskip(SKIP_1) | instid1(VALU_DEP_4)
	v_fma_f64 v[101:102], v[134:135], s[8:9], v[121:122]
	v_fma_f64 v[121:122], v[134:135], s[12:13], v[121:122]
	v_fma_f64 v[99:100], v[132:133], s[0:1], v[99:100]
	s_delay_alu instid0(VALU_DEP_4) | instskip(NEXT) | instid1(VALU_DEP_4)
	v_fma_f64 v[119:120], v[132:133], s[2:3], v[119:120]
	v_fma_f64 v[101:102], v[136:137], s[2:3], v[101:102]
	s_delay_alu instid0(VALU_DEP_4) | instskip(NEXT) | instid1(VALU_DEP_4)
	v_fma_f64 v[121:122], v[136:137], s[0:1], v[121:122]
	v_fma_f64 v[99:100], v[103:104], s[14:15], v[99:100]
	s_delay_alu instid0(VALU_DEP_4) | instskip(SKIP_4) | instid1(VALU_DEP_4)
	v_fma_f64 v[103:104], v[103:104], s[14:15], v[119:120]
	v_add_f64 v[119:120], v[107:108], v[111:112]
	v_fma_f64 v[101:102], v[105:106], s[14:15], v[101:102]
	v_fma_f64 v[105:106], v[105:106], s[14:15], v[121:122]
	v_add_f64 v[121:122], v[109:110], v[113:114]
	v_fma_f64 v[119:120], v[119:120], -0.5, v[24:25]
	v_add_f64 v[24:25], v[24:25], v[28:29]
	v_add_f64 v[28:29], v[28:29], -v[107:108]
	s_delay_alu instid0(VALU_DEP_4) | instskip(SKIP_3) | instid1(VALU_DEP_3)
	v_fma_f64 v[121:122], v[121:122], -0.5, v[26:27]
	v_add_f64 v[26:27], v[26:27], v[30:31]
	v_add_f64 v[30:31], v[30:31], -v[109:110]
	v_add_f64 v[24:25], v[24:25], v[107:108]
	v_add_f64 v[26:27], v[26:27], v[109:110]
	s_delay_alu instid0(VALU_DEP_2) | instskip(SKIP_1) | instid1(VALU_DEP_3)
	v_add_f64 v[24:25], v[24:25], v[111:112]
	v_add_f64 v[111:112], v[115:116], -v[111:112]
	v_add_f64 v[26:27], v[26:27], v[113:114]
	s_delay_alu instid0(VALU_DEP_3)
	v_add_f64 v[107:108], v[24:25], v[115:116]
	v_add_f64 v[24:25], v[117:118], -v[113:114]
	v_fma_f64 v[113:114], v[132:133], s[12:13], v[119:120]
	v_fma_f64 v[115:116], v[136:137], s[12:13], v[121:122]
	v_add_f64 v[28:29], v[28:29], v[111:112]
	v_add_f64 v[109:110], v[26:27], v[117:118]
	v_fma_f64 v[26:27], v[132:133], s[8:9], v[119:120]
	v_fma_f64 v[117:118], v[136:137], s[8:9], v[121:122]
	v_add_f64 v[24:25], v[30:31], v[24:25]
	v_fma_f64 v[30:31], v[126:127], s[2:3], v[113:114]
	v_fma_f64 v[113:114], v[134:135], s[2:3], v[115:116]
	v_fma_f64 v[26:27], v[126:127], s[0:1], v[26:27]
	v_fma_f64 v[117:118], v[134:135], s[0:1], v[117:118]
	v_add_f64 v[126:127], v[82:83], -v[84:85]
	v_fma_f64 v[115:116], v[28:29], s[14:15], v[30:31]
	v_fma_f64 v[113:114], v[24:25], s[14:15], v[113:114]
	;; [unrolled: 1-line block ×4, first 2 shown]
	ds_load_b128 v[24:27], v168 offset:4160
	ds_load_b128 v[119:122], v168 offset:1040
	;; [unrolled: 1-line block ×4, first 2 shown]
	s_waitcnt lgkmcnt(0)
	s_barrier
	buffer_gl0_inv
	scratch_load_b32 v123, off, off offset:920 ; 4-byte Folded Reload
	s_waitcnt vmcnt(0)
	ds_store_b128 v123, v[107:110]
	ds_store_b128 v123, v[111:114] offset:208
	ds_store_b128 v123, v[99:102] offset:416
	;; [unrolled: 1-line block ×4, first 2 shown]
	v_add_f64 v[99:100], v[84:85], -v[82:83]
	v_add_f64 v[101:102], v[90:91], -v[92:93]
	;; [unrolled: 1-line block ×6, first 2 shown]
	v_add_f64 v[103:104], v[99:100], v[101:102]
	v_add_f64 v[99:100], v[86:87], -v[80:81]
	v_add_f64 v[101:102], v[88:89], -v[94:95]
	s_delay_alu instid0(VALU_DEP_1) | instskip(SKIP_1) | instid1(VALU_DEP_1)
	v_add_f64 v[105:106], v[99:100], v[101:102]
	v_add_f64 v[99:100], v[82:83], v[92:93]
	v_fma_f64 v[107:108], v[99:100], -0.5, v[119:120]
	v_add_f64 v[99:100], v[80:81], v[94:95]
	s_delay_alu instid0(VALU_DEP_1) | instskip(NEXT) | instid1(VALU_DEP_3)
	v_fma_f64 v[109:110], v[99:100], -0.5, v[121:122]
	v_fma_f64 v[99:100], v[111:112], s[12:13], v[107:108]
	v_fma_f64 v[107:108], v[111:112], s[8:9], v[107:108]
	s_delay_alu instid0(VALU_DEP_3) | instskip(SKIP_1) | instid1(VALU_DEP_4)
	v_fma_f64 v[101:102], v[115:116], s[8:9], v[109:110]
	v_fma_f64 v[109:110], v[115:116], s[12:13], v[109:110]
	;; [unrolled: 1-line block ×3, first 2 shown]
	s_delay_alu instid0(VALU_DEP_4) | instskip(NEXT) | instid1(VALU_DEP_4)
	v_fma_f64 v[107:108], v[113:114], s[2:3], v[107:108]
	v_fma_f64 v[101:102], v[117:118], s[2:3], v[101:102]
	s_delay_alu instid0(VALU_DEP_4) | instskip(NEXT) | instid1(VALU_DEP_4)
	v_fma_f64 v[109:110], v[117:118], s[0:1], v[109:110]
	v_fma_f64 v[99:100], v[103:104], s[14:15], v[99:100]
	s_delay_alu instid0(VALU_DEP_4) | instskip(SKIP_4) | instid1(VALU_DEP_4)
	v_fma_f64 v[103:104], v[103:104], s[14:15], v[107:108]
	v_add_f64 v[107:108], v[84:85], v[90:91]
	v_fma_f64 v[101:102], v[105:106], s[14:15], v[101:102]
	v_fma_f64 v[105:106], v[105:106], s[14:15], v[109:110]
	v_add_f64 v[109:110], v[86:87], v[88:89]
	v_fma_f64 v[107:108], v[107:108], -0.5, v[119:120]
	v_add_f64 v[119:120], v[119:120], v[82:83]
	s_delay_alu instid0(VALU_DEP_3) | instskip(SKIP_1) | instid1(VALU_DEP_3)
	v_fma_f64 v[109:110], v[109:110], -0.5, v[121:122]
	v_add_f64 v[121:122], v[121:122], v[80:81]
	v_add_f64 v[82:83], v[119:120], v[84:85]
	s_delay_alu instid0(VALU_DEP_2) | instskip(SKIP_1) | instid1(VALU_DEP_3)
	v_add_f64 v[84:85], v[121:122], v[86:87]
	v_add_f64 v[86:87], v[80:81], -v[86:87]
	v_add_f64 v[80:81], v[82:83], v[90:91]
	s_delay_alu instid0(VALU_DEP_3)
	v_add_f64 v[82:83], v[84:85], v[88:89]
	v_add_f64 v[84:85], v[92:93], -v[90:91]
	v_add_f64 v[88:89], v[94:95], -v[88:89]
	v_fma_f64 v[90:91], v[113:114], s[8:9], v[107:108]
	v_add_f64 v[80:81], v[80:81], v[92:93]
	v_fma_f64 v[92:93], v[113:114], s[12:13], v[107:108]
	v_fma_f64 v[107:108], v[117:118], s[8:9], v[109:110]
	v_add_f64 v[82:83], v[82:83], v[94:95]
	v_fma_f64 v[94:95], v[117:118], s[12:13], v[109:110]
	v_add_f64 v[109:110], v[126:127], v[84:85]
	v_add_f64 v[113:114], v[86:87], v[88:89]
	v_fma_f64 v[84:85], v[111:112], s[0:1], v[90:91]
	v_fma_f64 v[88:89], v[111:112], s[2:3], v[92:93]
	;; [unrolled: 1-line block ×3, first 2 shown]
	v_add_f64 v[92:93], v[74:75], -v[68:69]
	v_add_f64 v[107:108], v[66:67], -v[72:73]
	v_fma_f64 v[86:87], v[115:116], s[2:3], v[94:95]
	v_add_f64 v[94:95], v[64:65], -v[78:79]
	v_fma_f64 v[84:85], v[109:110], s[14:15], v[84:85]
	v_fma_f64 v[88:89], v[109:110], s[14:15], v[88:89]
	;; [unrolled: 1-line block ×4, first 2 shown]
	ds_store_b128 v169, v[80:83]
	ds_store_b128 v169, v[84:87] offset:208
	ds_store_b128 v169, v[99:102] offset:416
	;; [unrolled: 1-line block ×4, first 2 shown]
	v_add_f64 v[80:81], v[72:73], -v[66:67]
	v_add_f64 v[82:83], v[70:71], -v[76:77]
	;; [unrolled: 1-line block ×4, first 2 shown]
	v_add_f64 v[103:104], v[132:133], v[66:67]
	v_add_f64 v[105:106], v[134:135], v[64:65]
	;; [unrolled: 1-line block ×3, first 2 shown]
	v_add_f64 v[80:81], v[74:75], -v[64:65]
	v_add_f64 v[82:83], v[68:69], -v[78:79]
	s_delay_alu instid0(VALU_DEP_1) | instskip(SKIP_2) | instid1(VALU_DEP_2)
	v_add_f64 v[86:87], v[80:81], v[82:83]
	v_add_f64 v[80:81], v[66:67], v[76:77]
	;; [unrolled: 1-line block ×3, first 2 shown]
	v_fma_f64 v[88:89], v[80:81], -0.5, v[132:133]
	v_add_f64 v[80:81], v[64:65], v[78:79]
	s_delay_alu instid0(VALU_DEP_1) | instskip(NEXT) | instid1(VALU_DEP_3)
	v_fma_f64 v[90:91], v[80:81], -0.5, v[134:135]
	v_fma_f64 v[80:81], v[92:93], s[12:13], v[88:89]
	v_fma_f64 v[88:89], v[92:93], s[8:9], v[88:89]
	s_delay_alu instid0(VALU_DEP_3) | instskip(SKIP_1) | instid1(VALU_DEP_4)
	v_fma_f64 v[82:83], v[99:100], s[8:9], v[90:91]
	v_fma_f64 v[90:91], v[99:100], s[12:13], v[90:91]
	;; [unrolled: 1-line block ×3, first 2 shown]
	s_delay_alu instid0(VALU_DEP_4) | instskip(NEXT) | instid1(VALU_DEP_4)
	v_fma_f64 v[88:89], v[94:95], s[2:3], v[88:89]
	v_fma_f64 v[82:83], v[101:102], s[2:3], v[82:83]
	s_delay_alu instid0(VALU_DEP_4) | instskip(NEXT) | instid1(VALU_DEP_4)
	v_fma_f64 v[90:91], v[101:102], s[0:1], v[90:91]
	v_fma_f64 v[80:81], v[84:85], s[14:15], v[80:81]
	s_delay_alu instid0(VALU_DEP_4)
	v_fma_f64 v[84:85], v[84:85], s[14:15], v[88:89]
	v_add_f64 v[88:89], v[72:73], v[70:71]
	v_add_f64 v[72:73], v[105:106], v[74:75]
	v_fma_f64 v[82:83], v[86:87], s[14:15], v[82:83]
	v_fma_f64 v[86:87], v[86:87], s[14:15], v[90:91]
	v_add_f64 v[90:91], v[74:75], v[68:69]
	v_add_f64 v[74:75], v[64:65], -v[74:75]
	v_fma_f64 v[88:89], v[88:89], -0.5, v[132:133]
	v_add_f64 v[64:65], v[66:67], v[70:71]
	v_add_f64 v[66:67], v[72:73], v[68:69]
	v_add_f64 v[70:71], v[76:77], -v[70:71]
	v_add_f64 v[68:69], v[78:79], -v[68:69]
	v_fma_f64 v[90:91], v[90:91], -0.5, v[134:135]
	v_fma_f64 v[103:104], v[94:95], s[8:9], v[88:89]
	v_add_f64 v[64:65], v[64:65], v[76:77]
	v_add_f64 v[66:67], v[66:67], v[78:79]
	;; [unrolled: 1-line block ×4, first 2 shown]
	v_fma_f64 v[88:89], v[94:95], s[12:13], v[88:89]
	v_fma_f64 v[72:73], v[101:102], s[12:13], v[90:91]
	;; [unrolled: 1-line block ×4, first 2 shown]
	s_delay_alu instid0(VALU_DEP_4) | instskip(NEXT) | instid1(VALU_DEP_4)
	v_fma_f64 v[88:89], v[92:93], s[2:3], v[88:89]
	v_fma_f64 v[72:73], v[99:100], s[2:3], v[72:73]
	s_delay_alu instid0(VALU_DEP_4) | instskip(NEXT) | instid1(VALU_DEP_4)
	v_fma_f64 v[76:77], v[99:100], s[0:1], v[76:77]
	v_fma_f64 v[68:69], v[78:79], s[14:15], v[70:71]
	s_delay_alu instid0(VALU_DEP_3) | instskip(NEXT) | instid1(VALU_DEP_3)
	v_fma_f64 v[70:71], v[74:75], s[14:15], v[72:73]
	v_fma_f64 v[74:75], v[74:75], s[14:15], v[76:77]
	scratch_load_b32 v76, off, off offset:924 ; 4-byte Folded Reload
	v_fma_f64 v[72:73], v[78:79], s[14:15], v[88:89]
	v_add_f64 v[78:79], v[48:49], -v[62:63]
	s_waitcnt vmcnt(0)
	ds_store_b128 v76, v[64:67]
	ds_store_b128 v76, v[68:71] offset:208
	ds_store_b128 v76, v[80:83] offset:416
	;; [unrolled: 1-line block ×4, first 2 shown]
	v_add_f64 v[64:65], v[52:53], -v[50:51]
	v_add_f64 v[66:67], v[58:59], -v[60:61]
	v_add_f64 v[76:77], v[54:55], -v[56:57]
	v_add_f64 v[80:81], v[52:53], -v[58:59]
	v_add_f64 v[82:83], v[50:51], -v[60:61]
	s_delay_alu instid0(VALU_DEP_4) | instskip(SKIP_2) | instid1(VALU_DEP_1)
	v_add_f64 v[68:69], v[64:65], v[66:67]
	v_add_f64 v[64:65], v[54:55], -v[48:49]
	v_add_f64 v[66:67], v[56:57], -v[62:63]
	v_add_f64 v[70:71], v[64:65], v[66:67]
	v_add_f64 v[64:65], v[50:51], v[60:61]
	s_delay_alu instid0(VALU_DEP_1) | instskip(SKIP_1) | instid1(VALU_DEP_1)
	v_fma_f64 v[72:73], v[64:65], -0.5, v[28:29]
	v_add_f64 v[64:65], v[48:49], v[62:63]
	v_fma_f64 v[74:75], v[64:65], -0.5, v[30:31]
	s_delay_alu instid0(VALU_DEP_3) | instskip(SKIP_1) | instid1(VALU_DEP_3)
	v_fma_f64 v[64:65], v[76:77], s[12:13], v[72:73]
	v_fma_f64 v[72:73], v[76:77], s[8:9], v[72:73]
	;; [unrolled: 1-line block ×4, first 2 shown]
	s_delay_alu instid0(VALU_DEP_4) | instskip(NEXT) | instid1(VALU_DEP_4)
	v_fma_f64 v[64:65], v[78:79], s[0:1], v[64:65]
	v_fma_f64 v[72:73], v[78:79], s[2:3], v[72:73]
	s_delay_alu instid0(VALU_DEP_4) | instskip(NEXT) | instid1(VALU_DEP_4)
	v_fma_f64 v[66:67], v[82:83], s[2:3], v[66:67]
	v_fma_f64 v[74:75], v[82:83], s[0:1], v[74:75]
	;; [unrolled: 3-line block ×3, first 2 shown]
	v_add_f64 v[72:73], v[52:53], v[58:59]
	v_fma_f64 v[66:67], v[70:71], s[14:15], v[66:67]
	v_fma_f64 v[70:71], v[70:71], s[14:15], v[74:75]
	v_add_f64 v[74:75], v[54:55], v[56:57]
	s_delay_alu instid0(VALU_DEP_4) | instskip(SKIP_2) | instid1(VALU_DEP_4)
	v_fma_f64 v[72:73], v[72:73], -0.5, v[28:29]
	v_add_f64 v[28:29], v[28:29], v[50:51]
	v_add_f64 v[50:51], v[50:51], -v[52:53]
	v_fma_f64 v[74:75], v[74:75], -0.5, v[30:31]
	v_add_f64 v[30:31], v[30:31], v[48:49]
	v_add_f64 v[48:49], v[48:49], -v[54:55]
	v_add_f64 v[28:29], v[28:29], v[52:53]
	v_add_f64 v[52:53], v[60:61], -v[58:59]
	s_delay_alu instid0(VALU_DEP_4) | instskip(SKIP_1) | instid1(VALU_DEP_4)
	v_add_f64 v[30:31], v[30:31], v[54:55]
	v_add_f64 v[54:55], v[62:63], -v[56:57]
	v_add_f64 v[28:29], v[28:29], v[58:59]
	v_fma_f64 v[58:59], v[78:79], s[12:13], v[72:73]
	v_add_f64 v[52:53], v[50:51], v[52:53]
	v_add_f64 v[30:31], v[30:31], v[56:57]
	v_fma_f64 v[56:57], v[78:79], s[8:9], v[72:73]
	v_add_f64 v[54:55], v[48:49], v[54:55]
	;; [unrolled: 3-line block ×3, first 2 shown]
	v_fma_f64 v[48:49], v[76:77], s[0:1], v[56:57]
	v_fma_f64 v[56:57], v[76:77], s[2:3], v[58:59]
	;; [unrolled: 1-line block ×4, first 2 shown]
	v_add_f64 v[60:61], v[42:43], -v[40:41]
	v_fma_f64 v[48:49], v[52:53], s[14:15], v[48:49]
	v_fma_f64 v[52:53], v[52:53], s[14:15], v[56:57]
	scratch_load_b32 v56, off, off offset:908 ; 4-byte Folded Reload
	v_fma_f64 v[58:59], v[80:81], s[0:1], v[62:63]
	v_fma_f64 v[50:51], v[54:55], s[14:15], v[50:51]
	v_add_f64 v[62:63], v[36:37], -v[46:47]
	s_delay_alu instid0(VALU_DEP_3)
	v_fma_f64 v[54:55], v[54:55], s[14:15], v[58:59]
	s_waitcnt vmcnt(0)
	ds_store_b128 v56, v[28:31]
	ds_store_b128 v56, v[48:51] offset:208
	ds_store_b128 v56, v[64:67] offset:416
	;; [unrolled: 1-line block ×4, first 2 shown]
	v_add_f64 v[28:29], v[42:43], -v[36:37]
	v_add_f64 v[30:31], v[40:41], -v[46:47]
	;; [unrolled: 1-line block ×4, first 2 shown]
	s_delay_alu instid0(VALU_DEP_3) | instskip(SKIP_2) | instid1(VALU_DEP_1)
	v_add_f64 v[48:49], v[28:29], v[30:31]
	v_add_f64 v[28:29], v[34:35], -v[32:33]
	v_add_f64 v[30:31], v[38:39], -v[44:45]
	v_add_f64 v[50:51], v[28:29], v[30:31]
	v_add_f64 v[28:29], v[36:37], v[46:47]
	;; [unrolled: 1-line block ×3, first 2 shown]
	s_delay_alu instid0(VALU_DEP_2) | instskip(NEXT) | instid1(VALU_DEP_2)
	v_fma_f64 v[52:53], v[28:29], -0.5, v[24:25]
	v_fma_f64 v[58:59], v[30:31], -0.5, v[26:27]
	s_delay_alu instid0(VALU_DEP_2) | instskip(SKIP_1) | instid1(VALU_DEP_3)
	v_fma_f64 v[28:29], v[54:55], s[12:13], v[52:53]
	v_fma_f64 v[52:53], v[54:55], s[8:9], v[52:53]
	;; [unrolled: 1-line block ×4, first 2 shown]
	s_delay_alu instid0(VALU_DEP_4) | instskip(NEXT) | instid1(VALU_DEP_4)
	v_fma_f64 v[28:29], v[56:57], s[0:1], v[28:29]
	v_fma_f64 v[52:53], v[56:57], s[2:3], v[52:53]
	s_delay_alu instid0(VALU_DEP_4) | instskip(NEXT) | instid1(VALU_DEP_4)
	v_fma_f64 v[30:31], v[62:63], s[2:3], v[30:31]
	v_fma_f64 v[58:59], v[62:63], s[0:1], v[58:59]
	;; [unrolled: 3-line block ×3, first 2 shown]
	v_add_f64 v[52:53], v[42:43], v[40:41]
	v_fma_f64 v[30:31], v[50:51], s[14:15], v[30:31]
	v_fma_f64 v[50:51], v[50:51], s[14:15], v[58:59]
	v_add_f64 v[58:59], v[34:35], v[38:39]
	s_delay_alu instid0(VALU_DEP_4) | instskip(SKIP_2) | instid1(VALU_DEP_4)
	v_fma_f64 v[52:53], v[52:53], -0.5, v[24:25]
	v_add_f64 v[24:25], v[24:25], v[36:37]
	v_add_f64 v[36:37], v[36:37], -v[42:43]
	v_fma_f64 v[58:59], v[58:59], -0.5, v[26:27]
	v_add_f64 v[26:27], v[26:27], v[32:33]
	v_add_f64 v[32:33], v[32:33], -v[34:35]
	v_add_f64 v[24:25], v[24:25], v[42:43]
	v_fma_f64 v[42:43], v[56:57], s[8:9], v[52:53]
	v_fma_f64 v[52:53], v[56:57], s[12:13], v[52:53]
	v_add_f64 v[26:27], v[26:27], v[34:35]
	v_add_f64 v[34:35], v[44:45], -v[38:39]
	v_add_f64 v[24:25], v[24:25], v[40:41]
	v_add_f64 v[40:41], v[46:47], -v[40:41]
	s_delay_alu instid0(VALU_DEP_4) | instskip(SKIP_1) | instid1(VALU_DEP_4)
	v_add_f64 v[26:27], v[26:27], v[38:39]
	v_fma_f64 v[38:39], v[62:63], s[12:13], v[58:59]
	v_add_f64 v[24:25], v[24:25], v[46:47]
	s_delay_alu instid0(VALU_DEP_4)
	v_add_f64 v[36:37], v[36:37], v[40:41]
	v_fma_f64 v[40:41], v[54:55], s[0:1], v[42:43]
	v_add_f64 v[46:47], v[32:33], v[34:35]
	v_add_f64 v[26:27], v[26:27], v[44:45]
	v_fma_f64 v[44:45], v[62:63], s[8:9], v[58:59]
	v_fma_f64 v[34:35], v[60:61], s[2:3], v[38:39]
	;; [unrolled: 1-line block ×4, first 2 shown]
	scratch_load_b32 v40, off, off offset:900 ; 4-byte Folded Reload
	v_fma_f64 v[38:39], v[60:61], s[0:1], v[44:45]
	v_fma_f64 v[34:35], v[46:47], s[14:15], v[34:35]
	;; [unrolled: 1-line block ×3, first 2 shown]
	s_delay_alu instid0(VALU_DEP_3)
	v_fma_f64 v[38:39], v[46:47], s[14:15], v[38:39]
	s_waitcnt vmcnt(0)
	ds_store_b128 v40, v[24:27]
	ds_store_b128 v40, v[32:35] offset:208
	ds_store_b128 v40, v[28:31] offset:416
	;; [unrolled: 1-line block ×4, first 2 shown]
	s_waitcnt lgkmcnt(0)
	s_barrier
	buffer_gl0_inv
	ds_load_b128 v[24:27], v168 offset:5200
	s_waitcnt lgkmcnt(0)
	v_mul_f64 v[28:29], v[130:131], v[26:27]
	s_delay_alu instid0(VALU_DEP_1) | instskip(SKIP_1) | instid1(VALU_DEP_1)
	v_fma_f64 v[60:61], v[128:129], v[24:25], v[28:29]
	v_mul_f64 v[24:25], v[130:131], v[24:25]
	v_fma_f64 v[62:63], v[128:129], v[26:27], -v[24:25]
	ds_load_b128 v[24:27], v168 offset:6240
	s_waitcnt lgkmcnt(0)
	v_mul_f64 v[28:29], v[130:131], v[26:27]
	s_delay_alu instid0(VALU_DEP_1) | instskip(SKIP_1) | instid1(VALU_DEP_1)
	v_fma_f64 v[80:81], v[128:129], v[24:25], v[28:29]
	v_mul_f64 v[24:25], v[130:131], v[24:25]
	v_fma_f64 v[82:83], v[128:129], v[26:27], -v[24:25]
	;; [unrolled: 7-line block ×4, first 2 shown]
	ds_load_b128 v[24:27], v168 offset:15600
	s_waitcnt lgkmcnt(0)
	v_mul_f64 v[28:29], v[226:227], v[26:27]
	s_delay_alu instid0(VALU_DEP_1) | instskip(SKIP_1) | instid1(VALU_DEP_2)
	v_fma_f64 v[68:69], v[224:225], v[24:25], v[28:29]
	v_mul_f64 v[24:25], v[226:227], v[24:25]
	v_add_f64 v[105:106], v[64:65], -v[68:69]
	s_delay_alu instid0(VALU_DEP_2) | instskip(SKIP_4) | instid1(VALU_DEP_2)
	v_fma_f64 v[70:71], v[224:225], v[26:27], -v[24:25]
	ds_load_b128 v[24:27], v168 offset:16640
	s_waitcnt lgkmcnt(0)
	v_mul_f64 v[28:29], v[226:227], v[26:27]
	v_add_f64 v[101:102], v[66:67], -v[70:71]
	v_fma_f64 v[88:89], v[224:225], v[24:25], v[28:29]
	v_mul_f64 v[24:25], v[226:227], v[24:25]
	s_delay_alu instid0(VALU_DEP_2) | instskip(NEXT) | instid1(VALU_DEP_2)
	v_add_f64 v[109:110], v[84:85], -v[88:89]
	v_fma_f64 v[90:91], v[224:225], v[26:27], -v[24:25]
	ds_load_b128 v[24:27], v168 offset:20800
	s_waitcnt lgkmcnt(0)
	v_mul_f64 v[28:29], v[222:223], v[26:27]
	s_delay_alu instid0(VALU_DEP_1) | instskip(SKIP_1) | instid1(VALU_DEP_2)
	v_fma_f64 v[72:73], v[220:221], v[24:25], v[28:29]
	v_mul_f64 v[24:25], v[222:223], v[24:25]
	v_add_f64 v[103:104], v[60:61], -v[72:73]
	s_delay_alu instid0(VALU_DEP_2) | instskip(SKIP_4) | instid1(VALU_DEP_2)
	v_fma_f64 v[74:75], v[220:221], v[26:27], -v[24:25]
	ds_load_b128 v[24:27], v168 offset:21840
	s_waitcnt lgkmcnt(0)
	v_mul_f64 v[28:29], v[222:223], v[26:27]
	v_add_f64 v[99:100], v[62:63], -v[74:75]
	v_fma_f64 v[92:93], v[220:221], v[24:25], v[28:29]
	v_mul_f64 v[24:25], v[222:223], v[24:25]
	s_delay_alu instid0(VALU_DEP_1) | instskip(SKIP_3) | instid1(VALU_DEP_1)
	v_fma_f64 v[94:95], v[220:221], v[26:27], -v[24:25]
	ds_load_b128 v[24:27], v168 offset:7280
	s_waitcnt lgkmcnt(0)
	v_mul_f64 v[28:29], v[246:247], v[26:27]
	v_fma_f64 v[46:47], v[244:245], v[24:25], v[28:29]
	v_mul_f64 v[24:25], v[246:247], v[24:25]
	s_delay_alu instid0(VALU_DEP_1) | instskip(SKIP_3) | instid1(VALU_DEP_1)
	v_fma_f64 v[44:45], v[244:245], v[26:27], -v[24:25]
	ds_load_b128 v[24:27], v168 offset:12480
	s_waitcnt lgkmcnt(0)
	v_mul_f64 v[28:29], v[238:239], v[26:27]
	;; [unrolled: 7-line block ×4, first 2 shown]
	v_fma_f64 v[58:59], v[232:233], v[24:25], v[28:29]
	v_mul_f64 v[24:25], v[234:235], v[24:25]
	s_delay_alu instid0(VALU_DEP_2) | instskip(NEXT) | instid1(VALU_DEP_2)
	v_add_f64 v[113:114], v[46:47], -v[58:59]
	v_fma_f64 v[56:57], v[232:233], v[26:27], -v[24:25]
	ds_load_b128 v[24:27], v168 offset:8320
	s_waitcnt lgkmcnt(0)
	v_mul_f64 v[28:29], v[2:3], v[26:27]
	v_mul_f64 v[2:3], v[2:3], v[24:25]
	s_delay_alu instid0(VALU_DEP_2) | instskip(NEXT) | instid1(VALU_DEP_2)
	v_fma_f64 v[30:31], v[0:1], v[24:25], v[28:29]
	v_fma_f64 v[28:29], v[0:1], v[26:27], -v[2:3]
	ds_load_b128 v[0:3], v168 offset:13520
	s_waitcnt lgkmcnt(0)
	v_mul_f64 v[24:25], v[254:255], v[2:3]
	s_delay_alu instid0(VALU_DEP_1) | instskip(SKIP_1) | instid1(VALU_DEP_1)
	v_fma_f64 v[34:35], v[252:253], v[0:1], v[24:25]
	v_mul_f64 v[0:1], v[254:255], v[0:1]
	v_fma_f64 v[32:33], v[252:253], v[2:3], -v[0:1]
	ds_load_b128 v[0:3], v168 offset:18720
	s_waitcnt lgkmcnt(0)
	v_mul_f64 v[24:25], v[250:251], v[2:3]
	s_delay_alu instid0(VALU_DEP_1) | instskip(SKIP_1) | instid1(VALU_DEP_1)
	v_fma_f64 v[38:39], v[248:249], v[0:1], v[24:25]
	v_mul_f64 v[0:1], v[250:251], v[0:1]
	;; [unrolled: 7-line block ×6, first 2 shown]
	v_fma_f64 v[18:19], v[4:5], v[2:3], -v[0:1]
	ds_load_b128 v[0:3], v168 offset:24960
	s_waitcnt lgkmcnt(0)
	v_mul_f64 v[4:5], v[10:11], v[2:3]
	s_delay_alu instid0(VALU_DEP_1) | instskip(SKIP_2) | instid1(VALU_DEP_2)
	v_fma_f64 v[26:27], v[8:9], v[0:1], v[4:5]
	v_mul_f64 v[0:1], v[10:11], v[0:1]
	v_add_f64 v[4:5], v[74:75], -v[70:71]
	v_fma_f64 v[24:25], v[8:9], v[2:3], -v[0:1]
	v_add_f64 v[0:1], v[60:61], -v[64:65]
	v_add_f64 v[2:3], v[72:73], -v[68:69]
	ds_load_b128 v[8:11], v168
	v_add_f64 v[0:1], v[0:1], v[2:3]
	v_add_f64 v[2:3], v[62:63], -v[66:67]
	s_delay_alu instid0(VALU_DEP_1) | instskip(SKIP_2) | instid1(VALU_DEP_1)
	v_add_f64 v[2:3], v[2:3], v[4:5]
	v_add_f64 v[4:5], v[64:65], v[68:69]
	s_waitcnt lgkmcnt(0)
	v_fma_f64 v[76:77], v[4:5], -0.5, v[8:9]
	v_add_f64 v[4:5], v[66:67], v[70:71]
	s_delay_alu instid0(VALU_DEP_1) | instskip(NEXT) | instid1(VALU_DEP_3)
	v_fma_f64 v[78:79], v[4:5], -0.5, v[10:11]
	v_fma_f64 v[4:5], v[99:100], s[8:9], v[76:77]
	v_fma_f64 v[76:77], v[99:100], s[12:13], v[76:77]
	s_delay_alu instid0(VALU_DEP_3) | instskip(SKIP_1) | instid1(VALU_DEP_4)
	v_fma_f64 v[6:7], v[103:104], s[12:13], v[78:79]
	v_fma_f64 v[78:79], v[103:104], s[8:9], v[78:79]
	;; [unrolled: 1-line block ×3, first 2 shown]
	s_delay_alu instid0(VALU_DEP_4) | instskip(NEXT) | instid1(VALU_DEP_4)
	v_fma_f64 v[76:77], v[101:102], s[2:3], v[76:77]
	v_fma_f64 v[6:7], v[105:106], s[2:3], v[6:7]
	s_delay_alu instid0(VALU_DEP_4) | instskip(NEXT) | instid1(VALU_DEP_4)
	v_fma_f64 v[78:79], v[105:106], s[0:1], v[78:79]
	v_fma_f64 v[4:5], v[0:1], s[14:15], v[4:5]
	s_delay_alu instid0(VALU_DEP_4) | instskip(SKIP_4) | instid1(VALU_DEP_4)
	v_fma_f64 v[0:1], v[0:1], s[14:15], v[76:77]
	v_add_f64 v[76:77], v[60:61], v[72:73]
	v_fma_f64 v[6:7], v[2:3], s[14:15], v[6:7]
	v_fma_f64 v[2:3], v[2:3], s[14:15], v[78:79]
	v_add_f64 v[78:79], v[62:63], v[74:75]
	v_fma_f64 v[76:77], v[76:77], -0.5, v[8:9]
	v_add_f64 v[8:9], v[8:9], v[60:61]
	v_add_f64 v[60:61], v[64:65], -v[60:61]
	s_delay_alu instid0(VALU_DEP_4)
	v_fma_f64 v[78:79], v[78:79], -0.5, v[10:11]
	v_add_f64 v[10:11], v[10:11], v[62:63]
	v_add_f64 v[62:63], v[66:67], -v[62:63]
	v_add_f64 v[8:9], v[8:9], v[64:65]
	v_add_f64 v[64:65], v[68:69], -v[72:73]
	v_fma_f64 v[107:108], v[101:102], s[12:13], v[76:77]
	v_fma_f64 v[76:77], v[101:102], s[8:9], v[76:77]
	v_add_f64 v[101:102], v[82:83], -v[94:95]
	v_add_f64 v[10:11], v[10:11], v[66:67]
	v_add_f64 v[66:67], v[70:71], -v[74:75]
	v_add_f64 v[8:9], v[8:9], v[68:69]
	v_fma_f64 v[68:69], v[105:106], s[8:9], v[78:79]
	v_add_f64 v[64:65], v[60:61], v[64:65]
	v_fma_f64 v[60:61], v[99:100], s[0:1], v[107:108]
	v_add_f64 v[107:108], v[80:81], -v[92:93]
	v_add_f64 v[10:11], v[10:11], v[70:71]
	v_fma_f64 v[70:71], v[105:106], s[12:13], v[78:79]
	v_add_f64 v[66:67], v[62:63], v[66:67]
	v_fma_f64 v[62:63], v[103:104], s[2:3], v[68:69]
	;; [unrolled: 2-line block ×3, first 2 shown]
	v_fma_f64 v[60:61], v[64:65], s[14:15], v[60:61]
	v_add_f64 v[10:11], v[10:11], v[74:75]
	v_fma_f64 v[68:69], v[103:104], s[0:1], v[70:71]
	v_add_f64 v[70:71], v[92:93], -v[88:89]
	v_fma_f64 v[62:63], v[66:67], s[14:15], v[62:63]
	v_add_f64 v[74:75], v[86:87], v[90:91]
	v_fma_f64 v[64:65], v[64:65], s[14:15], v[72:73]
	v_add_f64 v[72:73], v[84:85], v[88:89]
	v_add_f64 v[103:104], v[86:87], -v[90:91]
	v_fma_f64 v[66:67], v[66:67], s[14:15], v[68:69]
	v_add_f64 v[68:69], v[80:81], -v[84:85]
	s_delay_alu instid0(VALU_DEP_1) | instskip(SKIP_2) | instid1(VALU_DEP_1)
	v_add_f64 v[76:77], v[68:69], v[70:71]
	v_add_f64 v[68:69], v[82:83], -v[86:87]
	v_add_f64 v[70:71], v[94:95], -v[90:91]
	v_add_f64 v[78:79], v[68:69], v[70:71]
	ds_load_b128 v[68:71], v168 offset:1040
	s_waitcnt lgkmcnt(0)
	v_fma_f64 v[99:100], v[72:73], -0.5, v[68:69]
	v_fma_f64 v[105:106], v[74:75], -0.5, v[70:71]
	s_delay_alu instid0(VALU_DEP_2) | instskip(NEXT) | instid1(VALU_DEP_2)
	v_fma_f64 v[72:73], v[101:102], s[8:9], v[99:100]
	v_fma_f64 v[74:75], v[107:108], s[12:13], v[105:106]
	v_fma_f64 v[99:100], v[101:102], s[12:13], v[99:100]
	v_fma_f64 v[105:106], v[107:108], s[8:9], v[105:106]
	s_delay_alu instid0(VALU_DEP_4) | instskip(NEXT) | instid1(VALU_DEP_4)
	v_fma_f64 v[72:73], v[103:104], s[0:1], v[72:73]
	v_fma_f64 v[74:75], v[109:110], s[2:3], v[74:75]
	s_delay_alu instid0(VALU_DEP_4) | instskip(NEXT) | instid1(VALU_DEP_4)
	v_fma_f64 v[99:100], v[103:104], s[2:3], v[99:100]
	v_fma_f64 v[105:106], v[109:110], s[0:1], v[105:106]
	;; [unrolled: 3-line block ×4, first 2 shown]
	v_add_f64 v[99:100], v[80:81], v[92:93]
	v_add_f64 v[105:106], v[82:83], v[94:95]
	s_delay_alu instid0(VALU_DEP_2) | instskip(NEXT) | instid1(VALU_DEP_2)
	v_fma_f64 v[99:100], v[99:100], -0.5, v[68:69]
	v_fma_f64 v[105:106], v[105:106], -0.5, v[70:71]
	v_add_f64 v[68:69], v[68:69], v[80:81]
	v_add_f64 v[70:71], v[70:71], v[82:83]
	v_add_f64 v[80:81], v[84:85], -v[80:81]
	v_add_f64 v[82:83], v[86:87], -v[82:83]
	v_fma_f64 v[111:112], v[103:104], s[12:13], v[99:100]
	v_fma_f64 v[99:100], v[103:104], s[8:9], v[99:100]
	v_add_f64 v[68:69], v[68:69], v[84:85]
	v_add_f64 v[70:71], v[70:71], v[86:87]
	v_add_f64 v[84:85], v[88:89], -v[92:93]
	v_add_f64 v[86:87], v[90:91], -v[94:95]
	s_delay_alu instid0(VALU_DEP_4) | instskip(NEXT) | instid1(VALU_DEP_4)
	v_add_f64 v[68:69], v[68:69], v[88:89]
	v_add_f64 v[70:71], v[70:71], v[90:91]
	v_fma_f64 v[88:89], v[109:110], s[8:9], v[105:106]
	v_fma_f64 v[90:91], v[109:110], s[12:13], v[105:106]
	v_add_f64 v[86:87], v[82:83], v[86:87]
	v_add_f64 v[84:85], v[80:81], v[84:85]
	v_fma_f64 v[80:81], v[101:102], s[0:1], v[111:112]
	v_add_f64 v[109:110], v[44:45], -v[56:57]
	v_add_f64 v[111:112], v[50:51], -v[54:55]
	v_add_f64 v[68:69], v[68:69], v[92:93]
	v_fma_f64 v[92:93], v[101:102], s[2:3], v[99:100]
	v_fma_f64 v[82:83], v[107:108], s[2:3], v[88:89]
	;; [unrolled: 1-line block ×3, first 2 shown]
	v_add_f64 v[90:91], v[54:55], -v[58:59]
	v_add_f64 v[107:108], v[48:49], -v[52:53]
	v_fma_f64 v[80:81], v[84:85], s[14:15], v[80:81]
	v_add_f64 v[70:71], v[70:71], v[94:95]
	v_fma_f64 v[84:85], v[84:85], s[14:15], v[92:93]
	v_fma_f64 v[82:83], v[86:87], s[14:15], v[82:83]
	;; [unrolled: 1-line block ×3, first 2 shown]
	v_add_f64 v[88:89], v[50:51], -v[46:47]
	v_add_f64 v[92:93], v[46:47], v[58:59]
	s_delay_alu instid0(VALU_DEP_2) | instskip(SKIP_2) | instid1(VALU_DEP_1)
	v_add_f64 v[99:100], v[88:89], v[90:91]
	v_add_f64 v[88:89], v[48:49], -v[44:45]
	v_add_f64 v[90:91], v[52:53], -v[56:57]
	v_add_f64 v[101:102], v[88:89], v[90:91]
	ds_load_b128 v[88:91], v168 offset:2080
	s_waitcnt lgkmcnt(0)
	v_fma_f64 v[103:104], v[92:93], -0.5, v[88:89]
	v_add_f64 v[92:93], v[44:45], v[56:57]
	s_delay_alu instid0(VALU_DEP_1) | instskip(NEXT) | instid1(VALU_DEP_3)
	v_fma_f64 v[105:106], v[92:93], -0.5, v[90:91]
	v_fma_f64 v[92:93], v[107:108], s[12:13], v[103:104]
	v_fma_f64 v[103:104], v[107:108], s[8:9], v[103:104]
	s_delay_alu instid0(VALU_DEP_3) | instskip(NEXT) | instid1(VALU_DEP_3)
	v_fma_f64 v[94:95], v[111:112], s[8:9], v[105:106]
	v_fma_f64 v[92:93], v[109:110], s[0:1], v[92:93]
	;; [unrolled: 1-line block ×3, first 2 shown]
	s_delay_alu instid0(VALU_DEP_4) | instskip(NEXT) | instid1(VALU_DEP_4)
	v_fma_f64 v[103:104], v[109:110], s[2:3], v[103:104]
	v_fma_f64 v[94:95], v[113:114], s[2:3], v[94:95]
	s_delay_alu instid0(VALU_DEP_4) | instskip(NEXT) | instid1(VALU_DEP_4)
	v_fma_f64 v[92:93], v[99:100], s[14:15], v[92:93]
	v_fma_f64 v[105:106], v[113:114], s[0:1], v[105:106]
	s_delay_alu instid0(VALU_DEP_4) | instskip(SKIP_2) | instid1(VALU_DEP_4)
	v_fma_f64 v[99:100], v[99:100], s[14:15], v[103:104]
	v_add_f64 v[103:104], v[50:51], v[54:55]
	v_fma_f64 v[94:95], v[101:102], s[14:15], v[94:95]
	v_fma_f64 v[101:102], v[101:102], s[14:15], v[105:106]
	v_add_f64 v[105:106], v[48:49], v[52:53]
	s_delay_alu instid0(VALU_DEP_4) | instskip(SKIP_2) | instid1(VALU_DEP_4)
	v_fma_f64 v[103:104], v[103:104], -0.5, v[88:89]
	v_add_f64 v[88:89], v[88:89], v[46:47]
	v_add_f64 v[46:47], v[46:47], -v[50:51]
	v_fma_f64 v[105:106], v[105:106], -0.5, v[90:91]
	v_add_f64 v[90:91], v[90:91], v[44:45]
	s_delay_alu instid0(VALU_DEP_4)
	v_add_f64 v[50:51], v[88:89], v[50:51]
	v_fma_f64 v[115:116], v[109:110], s[8:9], v[103:104]
	v_fma_f64 v[103:104], v[109:110], s[12:13], v[103:104]
	v_add_f64 v[44:45], v[44:45], -v[48:49]
	v_add_f64 v[88:89], v[90:91], v[48:49]
	v_add_f64 v[50:51], v[50:51], v[54:55]
	v_add_f64 v[54:55], v[58:59], -v[54:55]
	v_add_f64 v[48:49], v[56:57], -v[52:53]
	s_delay_alu instid0(VALU_DEP_4) | instskip(NEXT) | instid1(VALU_DEP_4)
	v_add_f64 v[90:91], v[88:89], v[52:53]
	v_add_f64 v[88:89], v[50:51], v[58:59]
	v_fma_f64 v[50:51], v[113:114], s[12:13], v[105:106]
	v_fma_f64 v[52:53], v[113:114], s[8:9], v[105:106]
	v_add_f64 v[54:55], v[46:47], v[54:55]
	v_fma_f64 v[46:47], v[107:108], s[0:1], v[115:116]
	v_add_f64 v[58:59], v[44:45], v[48:49]
	v_add_f64 v[90:91], v[90:91], v[56:57]
	v_fma_f64 v[56:57], v[107:108], s[2:3], v[103:104]
	v_fma_f64 v[48:49], v[111:112], s[2:3], v[50:51]
	;; [unrolled: 1-line block ×4, first 2 shown]
	s_delay_alu instid0(VALU_DEP_3) | instskip(SKIP_1) | instid1(VALU_DEP_4)
	v_fma_f64 v[46:47], v[58:59], s[14:15], v[48:49]
	v_fma_f64 v[48:49], v[54:55], s[14:15], v[56:57]
	;; [unrolled: 1-line block ×3, first 2 shown]
	ds_load_b128 v[52:55], v168 offset:4160
	ds_load_b128 v[56:59], v168 offset:3120
	s_waitcnt lgkmcnt(0)
	s_barrier
	buffer_gl0_inv
	ds_store_b128 v168, v[8:11]
	ds_store_b128 v168, v[4:7] offset:1040
	ds_store_b128 v168, v[60:63] offset:2080
	;; [unrolled: 1-line block ×9, first 2 shown]
	scratch_load_b32 v0, off, off offset:916 ; 4-byte Folded Reload
	v_add_f64 v[2:3], v[38:39], -v[42:43]
	s_waitcnt vmcnt(0)
	ds_store_b128 v0, v[88:91] offset:10400
	ds_store_b128 v0, v[44:47] offset:11440
	;; [unrolled: 1-line block ×5, first 2 shown]
	v_add_f64 v[0:1], v[34:35], -v[30:31]
	v_add_f64 v[44:45], v[32:33], -v[36:37]
	;; [unrolled: 1-line block ×5, first 2 shown]
	v_add_f64 v[4:5], v[0:1], v[2:3]
	v_add_f64 v[0:1], v[32:33], -v[28:29]
	v_add_f64 v[2:3], v[36:37], -v[40:41]
	s_delay_alu instid0(VALU_DEP_1) | instskip(SKIP_1) | instid1(VALU_DEP_1)
	v_add_f64 v[6:7], v[0:1], v[2:3]
	v_add_f64 v[0:1], v[30:31], v[42:43]
	v_fma_f64 v[8:9], v[0:1], -0.5, v[56:57]
	v_add_f64 v[0:1], v[28:29], v[40:41]
	s_delay_alu instid0(VALU_DEP_1) | instskip(NEXT) | instid1(VALU_DEP_3)
	v_fma_f64 v[10:11], v[0:1], -0.5, v[58:59]
	v_fma_f64 v[0:1], v[44:45], s[12:13], v[8:9]
	v_fma_f64 v[8:9], v[44:45], s[8:9], v[8:9]
	s_delay_alu instid0(VALU_DEP_3) | instskip(SKIP_1) | instid1(VALU_DEP_4)
	v_fma_f64 v[2:3], v[48:49], s[8:9], v[10:11]
	v_fma_f64 v[10:11], v[48:49], s[12:13], v[10:11]
	;; [unrolled: 1-line block ×3, first 2 shown]
	s_delay_alu instid0(VALU_DEP_4) | instskip(NEXT) | instid1(VALU_DEP_4)
	v_fma_f64 v[8:9], v[46:47], s[2:3], v[8:9]
	v_fma_f64 v[2:3], v[50:51], s[2:3], v[2:3]
	s_delay_alu instid0(VALU_DEP_4) | instskip(NEXT) | instid1(VALU_DEP_4)
	v_fma_f64 v[10:11], v[50:51], s[0:1], v[10:11]
	v_fma_f64 v[0:1], v[4:5], s[14:15], v[0:1]
	s_delay_alu instid0(VALU_DEP_4) | instskip(SKIP_4) | instid1(VALU_DEP_4)
	v_fma_f64 v[4:5], v[4:5], s[14:15], v[8:9]
	v_add_f64 v[8:9], v[34:35], v[38:39]
	v_fma_f64 v[2:3], v[6:7], s[14:15], v[2:3]
	v_fma_f64 v[6:7], v[6:7], s[14:15], v[10:11]
	v_add_f64 v[10:11], v[32:33], v[36:37]
	v_fma_f64 v[8:9], v[8:9], -0.5, v[56:57]
	s_delay_alu instid0(VALU_DEP_2) | instskip(SKIP_2) | instid1(VALU_DEP_4)
	v_fma_f64 v[60:61], v[10:11], -0.5, v[58:59]
	v_add_f64 v[10:11], v[56:57], v[30:31]
	v_add_f64 v[56:57], v[58:59], v[28:29]
	v_fma_f64 v[58:59], v[46:47], s[8:9], v[8:9]
	v_fma_f64 v[46:47], v[46:47], s[12:13], v[8:9]
	v_add_f64 v[30:31], v[30:31], -v[34:35]
	v_add_f64 v[28:29], v[28:29], -v[32:33]
	v_add_f64 v[8:9], v[10:11], v[34:35]
	v_add_f64 v[10:11], v[56:57], v[32:33]
	v_add_f64 v[34:35], v[42:43], -v[38:39]
	v_add_f64 v[32:33], v[40:41], -v[36:37]
	s_delay_alu instid0(VALU_DEP_4) | instskip(NEXT) | instid1(VALU_DEP_4)
	v_add_f64 v[8:9], v[8:9], v[38:39]
	v_add_f64 v[10:11], v[10:11], v[36:37]
	v_fma_f64 v[36:37], v[50:51], s[12:13], v[60:61]
	v_fma_f64 v[38:39], v[50:51], s[8:9], v[60:61]
	v_add_f64 v[34:35], v[30:31], v[34:35]
	v_fma_f64 v[30:31], v[44:45], s[0:1], v[58:59]
	v_add_f64 v[8:9], v[8:9], v[42:43]
	v_add_f64 v[10:11], v[10:11], v[40:41]
	v_fma_f64 v[40:41], v[44:45], s[2:3], v[46:47]
	v_add_f64 v[42:43], v[28:29], v[32:33]
	v_fma_f64 v[32:33], v[48:49], s[2:3], v[36:37]
	v_fma_f64 v[36:37], v[48:49], s[0:1], v[38:39]
	;; [unrolled: 1-line block ×3, first 2 shown]
	s_delay_alu instid0(VALU_DEP_3) | instskip(SKIP_1) | instid1(VALU_DEP_4)
	v_fma_f64 v[30:31], v[42:43], s[14:15], v[32:33]
	v_fma_f64 v[32:33], v[34:35], s[14:15], v[40:41]
	;; [unrolled: 1-line block ×3, first 2 shown]
	scratch_load_b32 v36, off, off offset:912 ; 4-byte Folded Reload
	s_waitcnt vmcnt(0)
	ds_store_b128 v36, v[8:11] offset:15600
	ds_store_b128 v36, v[28:31] offset:16640
	;; [unrolled: 1-line block ×5, first 2 shown]
	v_add_f64 v[0:1], v[20:21], -v[14:15]
	v_add_f64 v[2:3], v[22:23], -v[26:27]
	;; [unrolled: 1-line block ×6, first 2 shown]
	v_add_f64 v[4:5], v[0:1], v[2:3]
	v_add_f64 v[0:1], v[16:17], -v[12:13]
	v_add_f64 v[2:3], v[18:19], -v[24:25]
	s_delay_alu instid0(VALU_DEP_1) | instskip(SKIP_1) | instid1(VALU_DEP_1)
	v_add_f64 v[6:7], v[0:1], v[2:3]
	v_add_f64 v[0:1], v[14:15], v[26:27]
	v_fma_f64 v[8:9], v[0:1], -0.5, v[52:53]
	v_add_f64 v[0:1], v[12:13], v[24:25]
	s_delay_alu instid0(VALU_DEP_1) | instskip(NEXT) | instid1(VALU_DEP_3)
	v_fma_f64 v[10:11], v[0:1], -0.5, v[54:55]
	v_fma_f64 v[0:1], v[28:29], s[12:13], v[8:9]
	v_fma_f64 v[8:9], v[28:29], s[8:9], v[8:9]
	s_delay_alu instid0(VALU_DEP_3) | instskip(NEXT) | instid1(VALU_DEP_3)
	v_fma_f64 v[2:3], v[32:33], s[8:9], v[10:11]
	v_fma_f64 v[0:1], v[30:31], s[0:1], v[0:1]
	s_delay_alu instid0(VALU_DEP_3) | instskip(SKIP_1) | instid1(VALU_DEP_4)
	v_fma_f64 v[8:9], v[30:31], s[2:3], v[8:9]
	v_fma_f64 v[10:11], v[32:33], s[12:13], v[10:11]
	;; [unrolled: 1-line block ×3, first 2 shown]
	s_delay_alu instid0(VALU_DEP_4) | instskip(NEXT) | instid1(VALU_DEP_4)
	v_fma_f64 v[0:1], v[4:5], s[14:15], v[0:1]
	v_fma_f64 v[4:5], v[4:5], s[14:15], v[8:9]
	v_add_f64 v[8:9], v[20:21], v[22:23]
	v_fma_f64 v[10:11], v[34:35], s[0:1], v[10:11]
	v_fma_f64 v[2:3], v[6:7], s[14:15], v[2:3]
	s_delay_alu instid0(VALU_DEP_3) | instskip(SKIP_1) | instid1(VALU_DEP_4)
	v_fma_f64 v[36:37], v[8:9], -0.5, v[52:53]
	v_add_f64 v[8:9], v[16:17], v[18:19]
	v_fma_f64 v[6:7], v[6:7], s[14:15], v[10:11]
	v_add_f64 v[10:11], v[54:55], v[12:13]
	v_add_f64 v[12:13], v[12:13], -v[16:17]
	s_delay_alu instid0(VALU_DEP_4) | instskip(SKIP_4) | instid1(VALU_DEP_4)
	v_fma_f64 v[38:39], v[8:9], -0.5, v[54:55]
	v_add_f64 v[8:9], v[52:53], v[14:15]
	v_add_f64 v[14:15], v[14:15], -v[20:21]
	v_add_f64 v[10:11], v[10:11], v[16:17]
	v_fma_f64 v[16:17], v[30:31], s[8:9], v[36:37]
	v_add_f64 v[8:9], v[8:9], v[20:21]
	v_add_f64 v[20:21], v[26:27], -v[22:23]
	s_delay_alu instid0(VALU_DEP_4) | instskip(SKIP_1) | instid1(VALU_DEP_4)
	v_add_f64 v[10:11], v[10:11], v[18:19]
	v_add_f64 v[18:19], v[24:25], -v[18:19]
	v_add_f64 v[8:9], v[8:9], v[22:23]
	v_fma_f64 v[22:23], v[30:31], s[12:13], v[36:37]
	v_add_f64 v[20:21], v[14:15], v[20:21]
	v_fma_f64 v[14:15], v[28:29], s[0:1], v[16:17]
	v_add_f64 v[18:19], v[12:13], v[18:19]
	v_add_f64 v[10:11], v[10:11], v[24:25]
	v_fma_f64 v[24:25], v[34:35], s[12:13], v[38:39]
	v_add_f64 v[8:9], v[8:9], v[26:27]
	v_fma_f64 v[16:17], v[28:29], s[2:3], v[22:23]
	v_fma_f64 v[26:27], v[34:35], s[8:9], v[38:39]
	;; [unrolled: 1-line block ×4, first 2 shown]
	s_delay_alu instid0(VALU_DEP_4) | instskip(SKIP_3) | instid1(VALU_DEP_2)
	v_fma_f64 v[16:17], v[20:21], s[14:15], v[16:17]
	scratch_load_b32 v20, off, off offset:904 ; 4-byte Folded Reload
	v_fma_f64 v[24:25], v[32:33], s[0:1], v[26:27]
	v_fma_f64 v[14:15], v[18:19], s[14:15], v[22:23]
	;; [unrolled: 1-line block ×3, first 2 shown]
	s_waitcnt vmcnt(0)
	ds_store_b128 v20, v[8:11] offset:20800
	ds_store_b128 v20, v[12:15] offset:21840
	;; [unrolled: 1-line block ×5, first 2 shown]
	s_waitcnt lgkmcnt(0)
	s_barrier
	buffer_gl0_inv
	scratch_load_b128 v[6:9], off, off offset:884 ; 16-byte Folded Reload
	ds_load_b128 v[0:3], v168 offset:10400
	s_clause 0x4
	scratch_load_b128 v[24:27], off, off offset:612
	scratch_load_b128 v[80:83], off, off offset:596
	;; [unrolled: 1-line block ×5, first 2 shown]
	s_waitcnt vmcnt(5) lgkmcnt(0)
	v_mul_f64 v[4:5], v[8:9], v[2:3]
	s_delay_alu instid0(VALU_DEP_1) | instskip(SKIP_1) | instid1(VALU_DEP_1)
	v_fma_f64 v[72:73], v[6:7], v[0:1], v[4:5]
	v_mul_f64 v[0:1], v[8:9], v[0:1]
	v_fma_f64 v[76:77], v[6:7], v[2:3], -v[0:1]
	scratch_load_b128 v[6:9], off, off offset:644 ; 16-byte Folded Reload
	ds_load_b128 v[0:3], v168 offset:15600
	s_waitcnt lgkmcnt(0)
	v_mul_f64 v[4:5], v[218:219], v[2:3]
	s_delay_alu instid0(VALU_DEP_1) | instskip(SKIP_1) | instid1(VALU_DEP_2)
	v_fma_f64 v[78:79], v[216:217], v[0:1], v[4:5]
	v_mul_f64 v[0:1], v[218:219], v[0:1]
	v_add_f64 v[105:106], v[72:73], -v[78:79]
	s_delay_alu instid0(VALU_DEP_2) | instskip(SKIP_4) | instid1(VALU_DEP_1)
	v_fma_f64 v[74:75], v[216:217], v[2:3], -v[0:1]
	ds_load_b128 v[0:3], v168 offset:5200
	v_add_f64 v[101:102], v[76:77], -v[74:75]
	s_waitcnt vmcnt(0) lgkmcnt(0)
	v_mul_f64 v[4:5], v[8:9], v[2:3]
	v_fma_f64 v[84:85], v[6:7], v[0:1], v[4:5]
	v_mul_f64 v[0:1], v[8:9], v[0:1]
	s_delay_alu instid0(VALU_DEP_1) | instskip(SKIP_4) | instid1(VALU_DEP_1)
	v_fma_f64 v[86:87], v[6:7], v[2:3], -v[0:1]
	scratch_load_b128 v[6:9], off, off offset:868 ; 16-byte Folded Reload
	ds_load_b128 v[0:3], v168 offset:20800
	s_waitcnt vmcnt(0) lgkmcnt(0)
	v_mul_f64 v[4:5], v[8:9], v[2:3]
	v_fma_f64 v[88:89], v[6:7], v[0:1], v[4:5]
	v_mul_f64 v[0:1], v[8:9], v[0:1]
	s_delay_alu instid0(VALU_DEP_2) | instskip(NEXT) | instid1(VALU_DEP_2)
	v_add_f64 v[103:104], v[84:85], -v[88:89]
	v_fma_f64 v[90:91], v[6:7], v[2:3], -v[0:1]
	scratch_load_b128 v[6:9], off, off offset:708 ; 16-byte Folded Reload
	ds_load_b128 v[0:3], v168 offset:6240
	v_add_f64 v[99:100], v[86:87], -v[90:91]
	s_waitcnt vmcnt(0) lgkmcnt(0)
	v_mul_f64 v[4:5], v[8:9], v[2:3]
	s_delay_alu instid0(VALU_DEP_1) | instskip(SKIP_1) | instid1(VALU_DEP_1)
	v_fma_f64 v[52:53], v[6:7], v[0:1], v[4:5]
	v_mul_f64 v[0:1], v[8:9], v[0:1]
	v_fma_f64 v[54:55], v[6:7], v[2:3], -v[0:1]
	scratch_load_b128 v[6:9], off, off offset:740 ; 16-byte Folded Reload
	ds_load_b128 v[0:3], v168 offset:11440
	s_waitcnt vmcnt(0) lgkmcnt(0)
	v_mul_f64 v[4:5], v[8:9], v[2:3]
	s_delay_alu instid0(VALU_DEP_1) | instskip(SKIP_1) | instid1(VALU_DEP_1)
	v_fma_f64 v[60:61], v[6:7], v[0:1], v[4:5]
	v_mul_f64 v[0:1], v[8:9], v[0:1]
	v_fma_f64 v[62:63], v[6:7], v[2:3], -v[0:1]
	scratch_load_b128 v[6:9], off, off offset:724 ; 16-byte Folded Reload
	ds_load_b128 v[0:3], v168 offset:16640
	s_waitcnt vmcnt(0) lgkmcnt(0)
	v_mul_f64 v[4:5], v[8:9], v[2:3]
	s_delay_alu instid0(VALU_DEP_1) | instskip(SKIP_1) | instid1(VALU_DEP_2)
	v_fma_f64 v[64:65], v[6:7], v[0:1], v[4:5]
	v_mul_f64 v[0:1], v[8:9], v[0:1]
	v_add_f64 v[109:110], v[60:61], -v[64:65]
	s_delay_alu instid0(VALU_DEP_2) | instskip(SKIP_4) | instid1(VALU_DEP_1)
	v_fma_f64 v[66:67], v[6:7], v[2:3], -v[0:1]
	scratch_load_b128 v[6:9], off, off offset:692 ; 16-byte Folded Reload
	ds_load_b128 v[0:3], v168 offset:21840
	s_waitcnt vmcnt(0) lgkmcnt(0)
	v_mul_f64 v[4:5], v[8:9], v[2:3]
	v_fma_f64 v[68:69], v[6:7], v[0:1], v[4:5]
	v_mul_f64 v[0:1], v[8:9], v[0:1]
	s_delay_alu instid0(VALU_DEP_2) | instskip(NEXT) | instid1(VALU_DEP_2)
	v_add_f64 v[107:108], v[52:53], -v[68:69]
	v_fma_f64 v[70:71], v[6:7], v[2:3], -v[0:1]
	scratch_load_b128 v[6:9], off, off offset:756 ; 16-byte Folded Reload
	ds_load_b128 v[0:3], v168 offset:7280
	s_waitcnt vmcnt(0) lgkmcnt(0)
	v_mul_f64 v[4:5], v[8:9], v[2:3]
	s_delay_alu instid0(VALU_DEP_1) | instskip(SKIP_1) | instid1(VALU_DEP_1)
	v_fma_f64 v[36:37], v[6:7], v[0:1], v[4:5]
	v_mul_f64 v[0:1], v[8:9], v[0:1]
	v_fma_f64 v[34:35], v[6:7], v[2:3], -v[0:1]
	scratch_load_b128 v[6:9], off, off offset:852 ; 16-byte Folded Reload
	ds_load_b128 v[0:3], v168 offset:12480
	s_waitcnt vmcnt(0) lgkmcnt(0)
	v_mul_f64 v[4:5], v[8:9], v[2:3]
	s_delay_alu instid0(VALU_DEP_1) | instskip(SKIP_1) | instid1(VALU_DEP_1)
	v_fma_f64 v[46:47], v[6:7], v[0:1], v[4:5]
	v_mul_f64 v[0:1], v[8:9], v[0:1]
	;; [unrolled: 8-line block ×3, first 2 shown]
	v_fma_f64 v[50:51], v[6:7], v[2:3], -v[0:1]
	scratch_load_b128 v[6:9], off, off offset:820 ; 16-byte Folded Reload
	ds_load_b128 v[0:3], v168 offset:22880
	s_waitcnt vmcnt(0) lgkmcnt(0)
	v_mul_f64 v[4:5], v[8:9], v[2:3]
	s_delay_alu instid0(VALU_DEP_1) | instskip(SKIP_1) | instid1(VALU_DEP_2)
	v_fma_f64 v[56:57], v[6:7], v[0:1], v[4:5]
	v_mul_f64 v[0:1], v[8:9], v[0:1]
	v_add_f64 v[113:114], v[36:37], -v[56:57]
	s_delay_alu instid0(VALU_DEP_2) | instskip(SKIP_4) | instid1(VALU_DEP_1)
	v_fma_f64 v[58:59], v[6:7], v[2:3], -v[0:1]
	scratch_load_b128 v[6:9], off, off offset:836 ; 16-byte Folded Reload
	ds_load_b128 v[0:3], v168 offset:8320
	s_waitcnt vmcnt(0) lgkmcnt(0)
	v_mul_f64 v[4:5], v[8:9], v[2:3]
	v_fma_f64 v[10:11], v[6:7], v[0:1], v[4:5]
	v_mul_f64 v[0:1], v[8:9], v[0:1]
	s_delay_alu instid0(VALU_DEP_1) | instskip(SKIP_3) | instid1(VALU_DEP_1)
	v_fma_f64 v[8:9], v[6:7], v[2:3], -v[0:1]
	ds_load_b128 v[0:3], v168 offset:13520
	s_waitcnt lgkmcnt(0)
	v_mul_f64 v[4:5], v[16:17], v[2:3]
	v_fma_f64 v[12:13], v[14:15], v[0:1], v[4:5]
	v_mul_f64 v[0:1], v[16:17], v[0:1]
	s_delay_alu instid0(VALU_DEP_1) | instskip(SKIP_4) | instid1(VALU_DEP_1)
	v_fma_f64 v[18:19], v[14:15], v[2:3], -v[0:1]
	scratch_load_b128 v[14:17], off, off offset:788 ; 16-byte Folded Reload
	ds_load_b128 v[0:3], v168 offset:18720
	s_waitcnt vmcnt(0) lgkmcnt(0)
	v_mul_f64 v[4:5], v[16:17], v[2:3]
	v_fma_f64 v[20:21], v[14:15], v[0:1], v[4:5]
	v_mul_f64 v[0:1], v[16:17], v[0:1]
	s_delay_alu instid0(VALU_DEP_1) | instskip(SKIP_3) | instid1(VALU_DEP_1)
	v_fma_f64 v[16:17], v[14:15], v[2:3], -v[0:1]
	ds_load_b128 v[0:3], v168 offset:23920
	s_waitcnt lgkmcnt(0)
	v_mul_f64 v[4:5], v[26:27], v[2:3]
	v_fma_f64 v[22:23], v[24:25], v[0:1], v[4:5]
	v_mul_f64 v[0:1], v[26:27], v[0:1]
	s_delay_alu instid0(VALU_DEP_1) | instskip(SKIP_4) | instid1(VALU_DEP_1)
	v_fma_f64 v[44:45], v[24:25], v[2:3], -v[0:1]
	scratch_load_b128 v[24:27], off, off offset:468 ; 16-byte Folded Reload
	ds_load_b128 v[0:3], v168 offset:9360
	s_waitcnt vmcnt(0) lgkmcnt(0)
	v_mul_f64 v[4:5], v[26:27], v[2:3]
	v_fma_f64 v[14:15], v[24:25], v[0:1], v[4:5]
	v_mul_f64 v[0:1], v[26:27], v[0:1]
	s_delay_alu instid0(VALU_DEP_1) | instskip(SKIP_3) | instid1(VALU_DEP_1)
	v_fma_f64 v[24:25], v[24:25], v[2:3], -v[0:1]
	ds_load_b128 v[0:3], v168 offset:14560
	s_waitcnt lgkmcnt(0)
	v_mul_f64 v[4:5], v[32:33], v[2:3]
	v_fma_f64 v[28:29], v[30:31], v[0:1], v[4:5]
	v_mul_f64 v[0:1], v[32:33], v[0:1]
	s_delay_alu instid0(VALU_DEP_1) | instskip(SKIP_3) | instid1(VALU_DEP_1)
	v_fma_f64 v[26:27], v[30:31], v[2:3], -v[0:1]
	ds_load_b128 v[0:3], v168 offset:19760
	s_waitcnt lgkmcnt(0)
	;; [unrolled: 7-line block ×3, first 2 shown]
	v_mul_f64 v[4:5], v[82:83], v[2:3]
	v_fma_f64 v[38:39], v[80:81], v[0:1], v[4:5]
	v_mul_f64 v[0:1], v[82:83], v[0:1]
	v_add_f64 v[4:5], v[90:91], -v[74:75]
	s_delay_alu instid0(VALU_DEP_2)
	v_fma_f64 v[40:41], v[80:81], v[2:3], -v[0:1]
	v_add_f64 v[0:1], v[84:85], -v[72:73]
	v_add_f64 v[2:3], v[88:89], -v[78:79]
	ds_load_b128 v[80:83], v168
	v_add_f64 v[0:1], v[0:1], v[2:3]
	v_add_f64 v[2:3], v[86:87], -v[76:77]
	s_delay_alu instid0(VALU_DEP_1) | instskip(SKIP_2) | instid1(VALU_DEP_1)
	v_add_f64 v[2:3], v[2:3], v[4:5]
	v_add_f64 v[4:5], v[72:73], v[78:79]
	s_waitcnt lgkmcnt(0)
	v_fma_f64 v[92:93], v[4:5], -0.5, v[80:81]
	v_add_f64 v[4:5], v[76:77], v[74:75]
	s_delay_alu instid0(VALU_DEP_1) | instskip(NEXT) | instid1(VALU_DEP_3)
	v_fma_f64 v[94:95], v[4:5], -0.5, v[82:83]
	v_fma_f64 v[4:5], v[99:100], s[8:9], v[92:93]
	v_fma_f64 v[92:93], v[99:100], s[12:13], v[92:93]
	s_delay_alu instid0(VALU_DEP_3) | instskip(SKIP_1) | instid1(VALU_DEP_4)
	v_fma_f64 v[6:7], v[103:104], s[12:13], v[94:95]
	v_fma_f64 v[94:95], v[103:104], s[8:9], v[94:95]
	;; [unrolled: 1-line block ×3, first 2 shown]
	s_delay_alu instid0(VALU_DEP_4) | instskip(NEXT) | instid1(VALU_DEP_4)
	v_fma_f64 v[92:93], v[101:102], s[2:3], v[92:93]
	v_fma_f64 v[6:7], v[105:106], s[2:3], v[6:7]
	s_delay_alu instid0(VALU_DEP_4) | instskip(NEXT) | instid1(VALU_DEP_4)
	v_fma_f64 v[94:95], v[105:106], s[0:1], v[94:95]
	v_fma_f64 v[4:5], v[0:1], s[14:15], v[4:5]
	s_delay_alu instid0(VALU_DEP_4) | instskip(SKIP_4) | instid1(VALU_DEP_4)
	v_fma_f64 v[0:1], v[0:1], s[14:15], v[92:93]
	v_add_f64 v[92:93], v[84:85], v[88:89]
	v_fma_f64 v[6:7], v[2:3], s[14:15], v[6:7]
	v_fma_f64 v[2:3], v[2:3], s[14:15], v[94:95]
	v_add_f64 v[94:95], v[86:87], v[90:91]
	v_fma_f64 v[92:93], v[92:93], -0.5, v[80:81]
	v_add_f64 v[80:81], v[80:81], v[84:85]
	s_delay_alu instid0(VALU_DEP_3) | instskip(SKIP_2) | instid1(VALU_DEP_4)
	v_fma_f64 v[94:95], v[94:95], -0.5, v[82:83]
	v_add_f64 v[82:83], v[82:83], v[86:87]
	v_add_f64 v[86:87], v[76:77], -v[86:87]
	v_add_f64 v[80:81], v[80:81], v[72:73]
	v_add_f64 v[72:73], v[72:73], -v[84:85]
	v_fma_f64 v[84:85], v[101:102], s[12:13], v[92:93]
	v_fma_f64 v[92:93], v[101:102], s[8:9], v[92:93]
	v_add_f64 v[82:83], v[82:83], v[76:77]
	v_add_f64 v[76:77], v[80:81], v[78:79]
	s_delay_alu instid0(VALU_DEP_2) | instskip(SKIP_1) | instid1(VALU_DEP_3)
	v_add_f64 v[80:81], v[82:83], v[74:75]
	v_add_f64 v[82:83], v[78:79], -v[88:89]
	v_add_f64 v[76:77], v[76:77], v[88:89]
	v_add_f64 v[74:75], v[74:75], -v[90:91]
	v_fma_f64 v[88:89], v[105:106], s[12:13], v[94:95]
	v_add_f64 v[78:79], v[80:81], v[90:91]
	v_fma_f64 v[80:81], v[105:106], s[8:9], v[94:95]
	v_add_f64 v[82:83], v[72:73], v[82:83]
	v_fma_f64 v[72:73], v[99:100], s[0:1], v[84:85]
	v_fma_f64 v[84:85], v[99:100], s[2:3], v[92:93]
	v_add_f64 v[86:87], v[86:87], v[74:75]
	v_fma_f64 v[88:89], v[103:104], s[0:1], v[88:89]
	v_add_f64 v[105:106], v[62:63], -v[66:67]
	ds_store_b128 v168, v[76:79]
	v_fma_f64 v[74:75], v[103:104], s[2:3], v[80:81]
	v_add_f64 v[103:104], v[54:55], -v[70:71]
	v_fma_f64 v[72:73], v[82:83], s[14:15], v[72:73]
	v_fma_f64 v[80:81], v[82:83], s[14:15], v[84:85]
	v_add_f64 v[84:85], v[52:53], -v[60:61]
	v_fma_f64 v[82:83], v[86:87], s[14:15], v[88:89]
	v_add_f64 v[88:89], v[60:61], v[64:65]
	v_fma_f64 v[74:75], v[86:87], s[14:15], v[74:75]
	v_add_f64 v[86:87], v[68:69], -v[64:65]
	s_delay_alu instid0(VALU_DEP_1) | instskip(SKIP_2) | instid1(VALU_DEP_1)
	v_add_f64 v[92:93], v[84:85], v[86:87]
	v_add_f64 v[84:85], v[54:55], -v[62:63]
	v_add_f64 v[86:87], v[70:71], -v[66:67]
	v_add_f64 v[94:95], v[84:85], v[86:87]
	ds_load_b128 v[84:87], v168 offset:1040
	s_waitcnt lgkmcnt(0)
	v_fma_f64 v[99:100], v[88:89], -0.5, v[84:85]
	v_add_f64 v[88:89], v[62:63], v[66:67]
	s_delay_alu instid0(VALU_DEP_1) | instskip(NEXT) | instid1(VALU_DEP_3)
	v_fma_f64 v[101:102], v[88:89], -0.5, v[86:87]
	v_fma_f64 v[88:89], v[103:104], s[8:9], v[99:100]
	v_fma_f64 v[99:100], v[103:104], s[12:13], v[99:100]
	s_delay_alu instid0(VALU_DEP_3) | instskip(SKIP_1) | instid1(VALU_DEP_4)
	v_fma_f64 v[90:91], v[107:108], s[12:13], v[101:102]
	v_fma_f64 v[101:102], v[107:108], s[8:9], v[101:102]
	;; [unrolled: 1-line block ×3, first 2 shown]
	s_delay_alu instid0(VALU_DEP_4) | instskip(NEXT) | instid1(VALU_DEP_4)
	v_fma_f64 v[99:100], v[105:106], s[2:3], v[99:100]
	v_fma_f64 v[90:91], v[109:110], s[2:3], v[90:91]
	s_delay_alu instid0(VALU_DEP_4) | instskip(NEXT) | instid1(VALU_DEP_4)
	v_fma_f64 v[101:102], v[109:110], s[0:1], v[101:102]
	v_fma_f64 v[88:89], v[92:93], s[14:15], v[88:89]
	s_delay_alu instid0(VALU_DEP_4) | instskip(SKIP_4) | instid1(VALU_DEP_4)
	v_fma_f64 v[92:93], v[92:93], s[14:15], v[99:100]
	v_add_f64 v[99:100], v[52:53], v[68:69]
	v_fma_f64 v[90:91], v[94:95], s[14:15], v[90:91]
	v_fma_f64 v[94:95], v[94:95], s[14:15], v[101:102]
	v_add_f64 v[101:102], v[54:55], v[70:71]
	v_fma_f64 v[99:100], v[99:100], -0.5, v[84:85]
	v_add_f64 v[84:85], v[84:85], v[52:53]
	s_delay_alu instid0(VALU_DEP_3) | instskip(SKIP_1) | instid1(VALU_DEP_4)
	v_fma_f64 v[101:102], v[101:102], -0.5, v[86:87]
	v_add_f64 v[86:87], v[86:87], v[54:55]
	v_fma_f64 v[111:112], v[105:106], s[12:13], v[99:100]
	s_delay_alu instid0(VALU_DEP_4)
	v_add_f64 v[84:85], v[84:85], v[60:61]
	v_add_f64 v[60:61], v[60:61], -v[52:53]
	v_fma_f64 v[99:100], v[105:106], s[8:9], v[99:100]
	v_add_f64 v[52:53], v[86:87], v[62:63]
	v_add_f64 v[62:63], v[62:63], -v[54:55]
	v_add_f64 v[54:55], v[84:85], v[64:65]
	v_add_f64 v[64:65], v[64:65], -v[68:69]
	s_delay_alu instid0(VALU_DEP_4) | instskip(SKIP_1) | instid1(VALU_DEP_4)
	v_add_f64 v[84:85], v[52:53], v[66:67]
	v_add_f64 v[66:67], v[66:67], -v[70:71]
	v_add_f64 v[52:53], v[54:55], v[68:69]
	v_fma_f64 v[68:69], v[109:110], s[8:9], v[101:102]
	v_add_f64 v[64:65], v[60:61], v[64:65]
	v_fma_f64 v[60:61], v[103:104], s[0:1], v[111:112]
	v_add_f64 v[111:112], v[46:47], -v[48:49]
	v_add_f64 v[54:55], v[84:85], v[70:71]
	v_fma_f64 v[70:71], v[109:110], s[12:13], v[101:102]
	v_add_f64 v[66:67], v[62:63], v[66:67]
	v_fma_f64 v[62:63], v[107:108], s[2:3], v[68:69]
	v_fma_f64 v[84:85], v[103:104], s[2:3], v[99:100]
	;; [unrolled: 1-line block ×3, first 2 shown]
	v_add_f64 v[109:110], v[34:35], -v[58:59]
	v_fma_f64 v[68:69], v[107:108], s[0:1], v[70:71]
	v_add_f64 v[70:71], v[48:49], -v[56:57]
	v_fma_f64 v[62:63], v[66:67], s[14:15], v[62:63]
	v_fma_f64 v[64:65], v[64:65], s[14:15], v[84:85]
	v_add_f64 v[84:85], v[36:37], v[56:57]
	v_add_f64 v[107:108], v[42:43], -v[50:51]
	v_fma_f64 v[66:67], v[66:67], s[14:15], v[68:69]
	v_add_f64 v[68:69], v[46:47], -v[36:37]
	s_delay_alu instid0(VALU_DEP_1) | instskip(SKIP_2) | instid1(VALU_DEP_1)
	v_add_f64 v[99:100], v[68:69], v[70:71]
	v_add_f64 v[68:69], v[42:43], -v[34:35]
	v_add_f64 v[70:71], v[50:51], -v[58:59]
	v_add_f64 v[101:102], v[68:69], v[70:71]
	ds_load_b128 v[68:71], v168 offset:2080
	s_waitcnt lgkmcnt(0)
	v_fma_f64 v[103:104], v[84:85], -0.5, v[68:69]
	v_add_f64 v[84:85], v[34:35], v[58:59]
	s_delay_alu instid0(VALU_DEP_1) | instskip(NEXT) | instid1(VALU_DEP_3)
	v_fma_f64 v[105:106], v[84:85], -0.5, v[70:71]
	v_fma_f64 v[84:85], v[107:108], s[12:13], v[103:104]
	v_fma_f64 v[103:104], v[107:108], s[8:9], v[103:104]
	s_delay_alu instid0(VALU_DEP_3) | instskip(SKIP_1) | instid1(VALU_DEP_4)
	v_fma_f64 v[86:87], v[111:112], s[8:9], v[105:106]
	v_fma_f64 v[105:106], v[111:112], s[12:13], v[105:106]
	;; [unrolled: 1-line block ×3, first 2 shown]
	s_delay_alu instid0(VALU_DEP_4) | instskip(NEXT) | instid1(VALU_DEP_4)
	v_fma_f64 v[103:104], v[109:110], s[2:3], v[103:104]
	v_fma_f64 v[86:87], v[113:114], s[2:3], v[86:87]
	s_delay_alu instid0(VALU_DEP_4) | instskip(NEXT) | instid1(VALU_DEP_4)
	v_fma_f64 v[105:106], v[113:114], s[0:1], v[105:106]
	v_fma_f64 v[84:85], v[99:100], s[14:15], v[84:85]
	s_delay_alu instid0(VALU_DEP_4) | instskip(SKIP_4) | instid1(VALU_DEP_4)
	v_fma_f64 v[99:100], v[99:100], s[14:15], v[103:104]
	v_add_f64 v[103:104], v[46:47], v[48:49]
	v_fma_f64 v[86:87], v[101:102], s[14:15], v[86:87]
	v_fma_f64 v[101:102], v[101:102], s[14:15], v[105:106]
	v_add_f64 v[105:106], v[42:43], v[50:51]
	v_fma_f64 v[103:104], v[103:104], -0.5, v[68:69]
	v_add_f64 v[68:69], v[68:69], v[36:37]
	s_delay_alu instid0(VALU_DEP_3) | instskip(SKIP_1) | instid1(VALU_DEP_4)
	v_fma_f64 v[105:106], v[105:106], -0.5, v[70:71]
	v_add_f64 v[70:71], v[70:71], v[34:35]
	v_fma_f64 v[115:116], v[109:110], s[8:9], v[103:104]
	s_delay_alu instid0(VALU_DEP_4)
	v_add_f64 v[68:69], v[68:69], v[46:47]
	v_add_f64 v[46:47], v[36:37], -v[46:47]
	v_fma_f64 v[103:104], v[109:110], s[12:13], v[103:104]
	v_add_f64 v[36:37], v[70:71], v[42:43]
	v_add_f64 v[42:43], v[34:35], -v[42:43]
	v_add_f64 v[34:35], v[68:69], v[48:49]
	v_add_f64 v[48:49], v[56:57], -v[48:49]
	v_fma_f64 v[70:71], v[107:108], s[2:3], v[103:104]
	v_add_f64 v[36:37], v[36:37], v[50:51]
	v_add_f64 v[50:51], v[58:59], -v[50:51]
	v_add_f64 v[34:35], v[34:35], v[56:57]
	v_fma_f64 v[56:57], v[113:114], s[12:13], v[105:106]
	v_add_f64 v[68:69], v[46:47], v[48:49]
	v_fma_f64 v[46:47], v[107:108], s[0:1], v[115:116]
	;; [unrolled: 2-line block ×4, first 2 shown]
	v_fma_f64 v[56:57], v[68:69], s[14:15], v[70:71]
	v_fma_f64 v[46:47], v[68:69], s[14:15], v[46:47]
	ds_load_b128 v[68:71], v168 offset:4160
	ds_load_b128 v[76:79], v168 offset:3120
	v_fma_f64 v[50:51], v[111:112], s[0:1], v[58:59]
	v_fma_f64 v[48:49], v[42:43], s[14:15], v[48:49]
	s_delay_alu instid0(VALU_DEP_2)
	v_fma_f64 v[58:59], v[42:43], s[14:15], v[50:51]
	ds_store_b128 v171, v[4:7] offset:5200
	ds_store_b128 v171, v[88:91] offset:6240
	;; [unrolled: 1-line block ×14, first 2 shown]
	v_add_f64 v[0:1], v[12:13], -v[10:11]
	v_add_f64 v[2:3], v[20:21], -v[22:23]
	;; [unrolled: 1-line block ×6, first 2 shown]
	s_waitcnt lgkmcnt(14)
	v_add_f64 v[52:53], v[76:77], v[10:11]
	v_add_f64 v[54:55], v[78:79], v[8:9]
	;; [unrolled: 1-line block ×3, first 2 shown]
	v_add_f64 v[0:1], v[18:19], -v[8:9]
	v_add_f64 v[2:3], v[16:17], -v[44:45]
	v_add_f64 v[52:53], v[52:53], v[12:13]
	s_delay_alu instid0(VALU_DEP_2) | instskip(SKIP_1) | instid1(VALU_DEP_1)
	v_add_f64 v[6:7], v[0:1], v[2:3]
	v_add_f64 v[0:1], v[10:11], v[22:23]
	v_fma_f64 v[34:35], v[0:1], -0.5, v[76:77]
	v_add_f64 v[0:1], v[8:9], v[44:45]
	s_delay_alu instid0(VALU_DEP_1) | instskip(NEXT) | instid1(VALU_DEP_3)
	v_fma_f64 v[36:37], v[0:1], -0.5, v[78:79]
	v_fma_f64 v[0:1], v[42:43], s[12:13], v[34:35]
	v_fma_f64 v[34:35], v[42:43], s[8:9], v[34:35]
	s_delay_alu instid0(VALU_DEP_3) | instskip(SKIP_1) | instid1(VALU_DEP_4)
	v_fma_f64 v[2:3], v[48:49], s[8:9], v[36:37]
	v_fma_f64 v[36:37], v[48:49], s[12:13], v[36:37]
	v_fma_f64 v[0:1], v[46:47], s[0:1], v[0:1]
	s_delay_alu instid0(VALU_DEP_4) | instskip(NEXT) | instid1(VALU_DEP_4)
	v_fma_f64 v[34:35], v[46:47], s[2:3], v[34:35]
	v_fma_f64 v[2:3], v[50:51], s[2:3], v[2:3]
	s_delay_alu instid0(VALU_DEP_4) | instskip(NEXT) | instid1(VALU_DEP_4)
	v_fma_f64 v[36:37], v[50:51], s[0:1], v[36:37]
	v_fma_f64 v[0:1], v[4:5], s[14:15], v[0:1]
	s_delay_alu instid0(VALU_DEP_4)
	v_fma_f64 v[4:5], v[4:5], s[14:15], v[34:35]
	v_add_f64 v[34:35], v[12:13], v[20:21]
	v_add_f64 v[12:13], v[10:11], -v[12:13]
	v_add_f64 v[10:11], v[54:55], v[18:19]
	v_fma_f64 v[2:3], v[6:7], s[14:15], v[2:3]
	v_fma_f64 v[6:7], v[6:7], s[14:15], v[36:37]
	v_add_f64 v[36:37], v[18:19], v[16:17]
	v_add_f64 v[18:19], v[8:9], -v[18:19]
	v_fma_f64 v[34:35], v[34:35], -0.5, v[76:77]
	v_add_f64 v[8:9], v[52:53], v[20:21]
	v_add_f64 v[10:11], v[10:11], v[16:17]
	v_add_f64 v[20:21], v[22:23], -v[20:21]
	v_add_f64 v[16:17], v[44:45], -v[16:17]
	v_fma_f64 v[36:37], v[36:37], -0.5, v[78:79]
	v_fma_f64 v[56:57], v[46:47], s[8:9], v[34:35]
	v_fma_f64 v[34:35], v[46:47], s[12:13], v[34:35]
	v_add_f64 v[8:9], v[8:9], v[22:23]
	v_add_f64 v[12:13], v[12:13], v[20:21]
	;; [unrolled: 1-line block ×3, first 2 shown]
	v_fma_f64 v[22:23], v[50:51], s[12:13], v[36:37]
	v_fma_f64 v[36:37], v[50:51], s[8:9], v[36:37]
	;; [unrolled: 1-line block ×4, first 2 shown]
	v_add_f64 v[42:43], v[18:19], v[16:17]
	v_fma_f64 v[18:19], v[48:49], s[2:3], v[22:23]
	v_fma_f64 v[22:23], v[48:49], s[0:1], v[36:37]
	v_fma_f64 v[16:17], v[12:13], s[14:15], v[20:21]
	v_fma_f64 v[20:21], v[12:13], s[14:15], v[34:35]
	v_add_f64 v[12:13], v[26:27], -v[30:31]
	v_add_f64 v[34:35], v[70:71], v[24:25]
	v_fma_f64 v[18:19], v[42:43], s[14:15], v[18:19]
	v_fma_f64 v[22:23], v[42:43], s[14:15], v[22:23]
	ds_store_b128 v171, v[8:11] offset:3120
	ds_store_b128 v97, v[16:19] offset:5200
	;; [unrolled: 1-line block ×5, first 2 shown]
	v_add_f64 v[0:1], v[28:29], -v[14:15]
	v_add_f64 v[2:3], v[32:33], -v[38:39]
	v_add_f64 v[18:19], v[28:29], -v[32:33]
	v_add_f64 v[16:17], v[24:25], -v[40:41]
	v_add_f64 v[20:21], v[14:15], -v[38:39]
	s_delay_alu instid0(VALU_DEP_4) | instskip(SKIP_2) | instid1(VALU_DEP_1)
	v_add_f64 v[4:5], v[0:1], v[2:3]
	v_add_f64 v[0:1], v[26:27], -v[24:25]
	v_add_f64 v[2:3], v[30:31], -v[40:41]
	v_add_f64 v[6:7], v[0:1], v[2:3]
	v_add_f64 v[0:1], v[14:15], v[38:39]
	s_delay_alu instid0(VALU_DEP_1) | instskip(SKIP_2) | instid1(VALU_DEP_2)
	v_fma_f64 v[8:9], v[0:1], -0.5, v[68:69]
	v_add_f64 v[0:1], v[24:25], v[40:41]
	v_add_f64 v[24:25], v[24:25], -v[26:27]
	v_fma_f64 v[10:11], v[0:1], -0.5, v[70:71]
	s_delay_alu instid0(VALU_DEP_4) | instskip(SKIP_1) | instid1(VALU_DEP_3)
	v_fma_f64 v[0:1], v[12:13], s[12:13], v[8:9]
	v_fma_f64 v[8:9], v[12:13], s[8:9], v[8:9]
	;; [unrolled: 1-line block ×4, first 2 shown]
	s_delay_alu instid0(VALU_DEP_4) | instskip(NEXT) | instid1(VALU_DEP_4)
	v_fma_f64 v[0:1], v[16:17], s[0:1], v[0:1]
	v_fma_f64 v[8:9], v[16:17], s[2:3], v[8:9]
	s_delay_alu instid0(VALU_DEP_4) | instskip(NEXT) | instid1(VALU_DEP_4)
	v_fma_f64 v[2:3], v[20:21], s[2:3], v[2:3]
	v_fma_f64 v[10:11], v[20:21], s[0:1], v[10:11]
	;; [unrolled: 3-line block ×3, first 2 shown]
	v_add_f64 v[8:9], v[28:29], v[32:33]
	v_fma_f64 v[2:3], v[6:7], s[14:15], v[2:3]
	v_fma_f64 v[6:7], v[6:7], s[14:15], v[10:11]
	v_add_f64 v[10:11], v[26:27], v[30:31]
	s_delay_alu instid0(VALU_DEP_4) | instskip(NEXT) | instid1(VALU_DEP_2)
	v_fma_f64 v[8:9], v[8:9], -0.5, v[68:69]
	v_fma_f64 v[22:23], v[10:11], -0.5, v[70:71]
	v_add_f64 v[10:11], v[68:69], v[14:15]
	v_add_f64 v[14:15], v[14:15], -v[28:29]
	s_delay_alu instid0(VALU_DEP_2) | instskip(SKIP_3) | instid1(VALU_DEP_4)
	v_add_f64 v[10:11], v[10:11], v[28:29]
	v_fma_f64 v[28:29], v[16:17], s[8:9], v[8:9]
	v_fma_f64 v[16:17], v[16:17], s[12:13], v[8:9]
	v_add_f64 v[8:9], v[34:35], v[26:27]
	v_add_f64 v[10:11], v[10:11], v[32:33]
	v_add_f64 v[32:33], v[38:39], -v[32:33]
	s_delay_alu instid0(VALU_DEP_4) | instskip(NEXT) | instid1(VALU_DEP_4)
	v_fma_f64 v[16:17], v[12:13], s[2:3], v[16:17]
	v_add_f64 v[26:27], v[8:9], v[30:31]
	s_delay_alu instid0(VALU_DEP_4) | instskip(NEXT) | instid1(VALU_DEP_2)
	v_add_f64 v[8:9], v[10:11], v[38:39]
	v_add_f64 v[10:11], v[26:27], v[40:41]
	v_add_f64 v[26:27], v[40:41], -v[30:31]
	v_fma_f64 v[30:31], v[20:21], s[12:13], v[22:23]
	v_fma_f64 v[20:21], v[20:21], s[8:9], v[22:23]
	v_add_f64 v[22:23], v[14:15], v[32:33]
	v_fma_f64 v[14:15], v[12:13], s[0:1], v[28:29]
	v_add_f64 v[24:25], v[24:25], v[26:27]
	v_fma_f64 v[26:27], v[18:19], s[2:3], v[30:31]
	v_fma_f64 v[18:19], v[18:19], s[0:1], v[20:21]
	;; [unrolled: 1-line block ×4, first 2 shown]
	s_mov_b32 s2, 0x6615bd85
	s_mov_b32 s3, 0x3f442a38
	s_mul_hi_u32 s1, s4, 0x7d
	s_delay_alu instid0(VALU_DEP_4) | instskip(NEXT) | instid1(VALU_DEP_4)
	v_fma_f64 v[14:15], v[24:25], s[14:15], v[26:27]
	v_fma_f64 v[18:19], v[24:25], s[14:15], v[18:19]
	ds_store_b128 v171, v[8:11] offset:4160
	ds_store_b128 v96, v[12:15] offset:5200
	;; [unrolled: 1-line block ×5, first 2 shown]
	s_waitcnt lgkmcnt(0)
	s_barrier
	buffer_gl0_inv
	s_clause 0x5
	scratch_load_b128 v[6:9], off, off offset:84
	scratch_load_b128 v[14:17], off, off offset:68
	;; [unrolled: 1-line block ×6, first 2 shown]
	ds_load_b128 v[0:3], v168
	s_clause 0x6
	scratch_load_b128 v[22:25], off, off offset:164
	scratch_load_b128 v[34:37], off, off offset:180
	;; [unrolled: 1-line block ×6, first 2 shown]
	scratch_load_b32 v56, off, off offset:64
	s_waitcnt vmcnt(12) lgkmcnt(0)
	v_mul_f64 v[4:5], v[8:9], v[2:3]
	s_waitcnt vmcnt(0)
	v_mad_u64_u32 v[54:55], null, s4, v56, 0
	s_delay_alu instid0(VALU_DEP_2) | instskip(SKIP_1) | instid1(VALU_DEP_1)
	v_fma_f64 v[4:5], v[6:7], v[0:1], v[4:5]
	v_mul_f64 v[0:1], v[8:9], v[0:1]
	v_fma_f64 v[6:7], v[6:7], v[2:3], -v[0:1]
	ds_load_b128 v[0:3], v168 offset:2000
	s_waitcnt lgkmcnt(0)
	v_mul_f64 v[8:9], v[12:13], v[2:3]
	s_delay_alu instid0(VALU_DEP_1) | instskip(SKIP_1) | instid1(VALU_DEP_1)
	v_fma_f64 v[8:9], v[10:11], v[0:1], v[8:9]
	v_mul_f64 v[0:1], v[12:13], v[0:1]
	v_fma_f64 v[10:11], v[10:11], v[2:3], -v[0:1]
	ds_load_b128 v[0:3], v168 offset:4000
	s_waitcnt lgkmcnt(0)
	v_mul_f64 v[12:13], v[16:17], v[2:3]
	s_delay_alu instid0(VALU_DEP_1) | instskip(SKIP_1) | instid1(VALU_DEP_1)
	;; [unrolled: 7-line block ×11, first 2 shown]
	v_fma_f64 v[48:49], v[50:51], v[0:1], v[48:49]
	v_mul_f64 v[0:1], v[52:53], v[0:1]
	v_fma_f64 v[50:51], v[50:51], v[2:3], -v[0:1]
	scratch_load_b64 v[0:1], off, off offset:56 ; 8-byte Folded Reload
	s_waitcnt vmcnt(0)
	v_mov_b32_e32 v3, v0
	s_delay_alu instid0(VALU_DEP_1) | instskip(NEXT) | instid1(VALU_DEP_1)
	v_mad_u64_u32 v[52:53], null, s6, v3, 0
	v_mov_b32_e32 v0, v53
	s_delay_alu instid0(VALU_DEP_1) | instskip(SKIP_1) | instid1(VALU_DEP_2)
	v_mad_u64_u32 v[1:2], null, s7, v3, v[0:1]
	v_mul_f64 v[2:3], v[6:7], s[2:3]
	v_mov_b32_e32 v53, v1
	v_mul_f64 v[0:1], v[4:5], s[2:3]
	v_mov_b32_e32 v4, v55
	s_delay_alu instid0(VALU_DEP_1) | instskip(NEXT) | instid1(VALU_DEP_4)
	v_mad_u64_u32 v[5:6], null, s5, v56, v[4:5]
	v_lshlrev_b64 v[6:7], 4, v[52:53]
	s_delay_alu instid0(VALU_DEP_2) | instskip(NEXT) | instid1(VALU_DEP_2)
	v_mov_b32_e32 v55, v5
	v_add_co_u32 v56, s0, s10, v6
	v_mul_f64 v[4:5], v[8:9], s[2:3]
	s_delay_alu instid0(VALU_DEP_3)
	v_lshlrev_b64 v[52:53], 4, v[54:55]
	v_add_co_ci_u32_e64 v54, s0, s11, v7, s0
	v_mul_f64 v[6:7], v[10:11], s[2:3]
	ds_load_b128 v[8:11], v168 offset:24000
	v_add_co_u32 v52, s0, v56, v52
	scratch_load_b128 v[56:59], off, off offset:244 ; 16-byte Folded Reload
	v_add_co_ci_u32_e64 v53, s0, v54, v53, s0
	s_mul_i32 s0, s5, 0x7d
	s_delay_alu instid0(SALU_CYCLE_1) | instskip(SKIP_1) | instid1(SALU_CYCLE_1)
	s_add_i32 s1, s1, s0
	s_mul_i32 s0, s4, 0x7d
	s_lshl_b64 s[6:7], s[0:1], 4
	global_store_b128 v[52:53], v[0:3], off
	v_add_co_u32 v52, s0, v52, s6
	s_delay_alu instid0(VALU_DEP_1) | instskip(SKIP_4) | instid1(VALU_DEP_1)
	v_add_co_ci_u32_e64 v53, s0, s7, v53, s0
	global_store_b128 v[52:53], v[4:7], off
	v_mul_f64 v[4:5], v[16:17], s[2:3]
	v_mul_f64 v[6:7], v[18:19], s[2:3]
	v_add_co_u32 v52, s0, v52, s6
	v_add_co_ci_u32_e64 v53, s0, s7, v53, s0
	v_mul_f64 v[16:17], v[28:29], s[2:3]
	v_mul_f64 v[18:19], v[30:31], s[2:3]
	;; [unrolled: 1-line block ×4, first 2 shown]
	s_waitcnt vmcnt(0) lgkmcnt(0)
	v_mul_f64 v[0:1], v[58:59], v[10:11]
	v_mul_f64 v[2:3], v[58:59], v[8:9]
	v_add_co_u32 v58, s0, v52, s6
	s_delay_alu instid0(VALU_DEP_1) | instskip(NEXT) | instid1(VALU_DEP_2)
	v_add_co_ci_u32_e64 v59, s0, s7, v53, s0
	v_add_co_u32 v60, s0, v58, s6
	s_delay_alu instid0(VALU_DEP_1) | instskip(NEXT) | instid1(VALU_DEP_2)
	v_add_co_ci_u32_e64 v61, s0, s7, v59, s0
	v_add_co_u32 v62, s0, v60, s6
	s_delay_alu instid0(VALU_DEP_1)
	v_add_co_ci_u32_e64 v63, s0, s7, v61, s0
	v_fma_f64 v[54:55], v[56:57], v[8:9], v[0:1]
	v_fma_f64 v[56:57], v[56:57], v[10:11], -v[2:3]
	v_mul_f64 v[0:1], v[12:13], s[2:3]
	v_mul_f64 v[2:3], v[14:15], s[2:3]
	;; [unrolled: 1-line block ×11, first 2 shown]
	v_add_co_u32 v44, s0, v62, s6
	v_mul_f64 v[34:35], v[46:47], s[2:3]
	v_mul_f64 v[36:37], v[48:49], s[2:3]
	;; [unrolled: 1-line block ×3, first 2 shown]
	v_add_co_ci_u32_e64 v45, s0, s7, v63, s0
	v_mul_f64 v[40:41], v[54:55], s[2:3]
	v_mul_f64 v[42:43], v[56:57], s[2:3]
	global_store_b128 v[52:53], v[0:3], off
	v_add_co_u32 v0, s0, v44, s6
	s_delay_alu instid0(VALU_DEP_1) | instskip(SKIP_2) | instid1(VALU_DEP_1)
	v_add_co_ci_u32_e64 v1, s0, s7, v45, s0
	global_store_b128 v[58:59], v[4:7], off
	v_add_co_u32 v2, s0, v0, s6
	v_add_co_ci_u32_e64 v3, s0, s7, v1, s0
	global_store_b128 v[60:61], v[8:11], off
	v_add_co_u32 v4, s0, v2, s6
	s_delay_alu instid0(VALU_DEP_1) | instskip(SKIP_2) | instid1(VALU_DEP_1)
	v_add_co_ci_u32_e64 v5, s0, s7, v3, s0
	global_store_b128 v[62:63], v[12:15], off
	v_add_co_u32 v6, s0, v4, s6
	v_add_co_ci_u32_e64 v7, s0, s7, v5, s0
	;; [unrolled: 7-line block ×3, first 2 shown]
	global_store_b128 v[2:3], v[24:27], off
	global_store_b128 v[4:5], v[28:31], off
	;; [unrolled: 1-line block ×5, first 2 shown]
	s_and_b32 exec_lo, exec_lo, vcc_lo
	s_cbranch_execz .LBB0_15
; %bb.14:
	global_load_b128 v[2:5], v[124:125], off offset:1040
	ds_load_b128 v[6:9], v171 offset:1040
	v_mad_u64_u32 v[12:13], null, 0xffffa650, s4, v[0:1]
	s_mul_i32 s0, s5, 0xffffa650
	s_delay_alu instid0(SALU_CYCLE_1)
	s_sub_i32 s0, s0, s4
	s_delay_alu instid0(VALU_DEP_1) | instid1(SALU_CYCLE_1)
	v_add_nc_u32_e32 v13, s0, v13
	s_waitcnt vmcnt(0) lgkmcnt(0)
	v_mul_f64 v[10:11], v[8:9], v[4:5]
	v_mul_f64 v[4:5], v[6:7], v[4:5]
	s_delay_alu instid0(VALU_DEP_2) | instskip(NEXT) | instid1(VALU_DEP_2)
	v_fma_f64 v[6:7], v[6:7], v[2:3], v[10:11]
	v_fma_f64 v[4:5], v[2:3], v[8:9], -v[4:5]
	s_delay_alu instid0(VALU_DEP_2) | instskip(NEXT) | instid1(VALU_DEP_2)
	v_mul_f64 v[2:3], v[6:7], s[2:3]
	v_mul_f64 v[4:5], v[4:5], s[2:3]
	global_store_b128 v[12:13], v[2:5], off
	global_load_b128 v[0:3], v[124:125], off offset:3040
	ds_load_b128 v[4:7], v168 offset:3040
	ds_load_b128 v[8:11], v168 offset:5040
	s_waitcnt vmcnt(0) lgkmcnt(1)
	v_mul_f64 v[14:15], v[6:7], v[2:3]
	v_mul_f64 v[2:3], v[4:5], v[2:3]
	s_delay_alu instid0(VALU_DEP_2) | instskip(SKIP_4) | instid1(VALU_DEP_3)
	v_fma_f64 v[4:5], v[4:5], v[0:1], v[14:15]
	scratch_load_b64 v[14:15], off, off offset:48 ; 8-byte Folded Reload
	v_fma_f64 v[2:3], v[0:1], v[6:7], -v[2:3]
	v_mul_f64 v[0:1], v[4:5], s[2:3]
	v_add_co_u32 v4, vcc_lo, v12, s6
	v_mul_f64 v[2:3], v[2:3], s[2:3]
	v_add_co_ci_u32_e32 v5, vcc_lo, s7, v13, vcc_lo
	s_delay_alu instid0(VALU_DEP_3) | instskip(NEXT) | instid1(VALU_DEP_2)
	v_add_co_u32 v12, vcc_lo, v4, s6
	v_add_co_ci_u32_e32 v13, vcc_lo, s7, v5, vcc_lo
	global_store_b128 v[4:5], v[0:3], off
	s_waitcnt vmcnt(0)
	global_load_b128 v[0:3], v[14:15], off offset:944
	s_waitcnt vmcnt(0) lgkmcnt(0)
	v_mul_f64 v[6:7], v[10:11], v[2:3]
	v_mul_f64 v[2:3], v[8:9], v[2:3]
	s_delay_alu instid0(VALU_DEP_2) | instskip(NEXT) | instid1(VALU_DEP_2)
	v_fma_f64 v[6:7], v[8:9], v[0:1], v[6:7]
	v_fma_f64 v[2:3], v[0:1], v[10:11], -v[2:3]
	s_delay_alu instid0(VALU_DEP_2) | instskip(NEXT) | instid1(VALU_DEP_2)
	v_mul_f64 v[0:1], v[6:7], s[2:3]
	v_mul_f64 v[2:3], v[2:3], s[2:3]
	global_store_b128 v[12:13], v[0:3], off
	global_load_b128 v[0:3], v[14:15], off offset:2944
	ds_load_b128 v[4:7], v168 offset:7040
	ds_load_b128 v[8:11], v168 offset:9040
	s_waitcnt vmcnt(0) lgkmcnt(1)
	v_mul_f64 v[14:15], v[6:7], v[2:3]
	v_mul_f64 v[2:3], v[4:5], v[2:3]
	s_delay_alu instid0(VALU_DEP_2) | instskip(SKIP_4) | instid1(VALU_DEP_3)
	v_fma_f64 v[4:5], v[4:5], v[0:1], v[14:15]
	scratch_load_b64 v[14:15], off, off offset:40 ; 8-byte Folded Reload
	v_fma_f64 v[2:3], v[0:1], v[6:7], -v[2:3]
	v_mul_f64 v[0:1], v[4:5], s[2:3]
	v_add_co_u32 v4, vcc_lo, v12, s6
	v_mul_f64 v[2:3], v[2:3], s[2:3]
	v_add_co_ci_u32_e32 v5, vcc_lo, s7, v13, vcc_lo
	s_delay_alu instid0(VALU_DEP_3) | instskip(NEXT) | instid1(VALU_DEP_2)
	v_add_co_u32 v12, vcc_lo, v4, s6
	v_add_co_ci_u32_e32 v13, vcc_lo, s7, v5, vcc_lo
	global_store_b128 v[4:5], v[0:3], off
	s_waitcnt vmcnt(0)
	global_load_b128 v[0:3], v[14:15], off offset:848
	;; [unrolled: 30-line block ×5, first 2 shown]
	s_waitcnt vmcnt(0) lgkmcnt(0)
	v_mul_f64 v[6:7], v[10:11], v[2:3]
	v_mul_f64 v[2:3], v[8:9], v[2:3]
	s_delay_alu instid0(VALU_DEP_2) | instskip(NEXT) | instid1(VALU_DEP_2)
	v_fma_f64 v[6:7], v[8:9], v[0:1], v[6:7]
	v_fma_f64 v[2:3], v[0:1], v[10:11], -v[2:3]
	s_delay_alu instid0(VALU_DEP_2) | instskip(NEXT) | instid1(VALU_DEP_2)
	v_mul_f64 v[0:1], v[6:7], s[2:3]
	v_mul_f64 v[2:3], v[2:3], s[2:3]
	global_store_b128 v[12:13], v[0:3], off
	global_load_b128 v[0:3], v[14:15], off offset:2560
	ds_load_b128 v[4:7], v168 offset:23040
	ds_load_b128 v[8:11], v168 offset:25040
	s_waitcnt vmcnt(0) lgkmcnt(1)
	v_mul_f64 v[14:15], v[6:7], v[2:3]
	v_mul_f64 v[2:3], v[4:5], v[2:3]
	s_delay_alu instid0(VALU_DEP_2) | instskip(NEXT) | instid1(VALU_DEP_2)
	v_fma_f64 v[4:5], v[4:5], v[0:1], v[14:15]
	v_fma_f64 v[2:3], v[0:1], v[6:7], -v[2:3]
	s_delay_alu instid0(VALU_DEP_2) | instskip(NEXT) | instid1(VALU_DEP_2)
	v_mul_f64 v[0:1], v[4:5], s[2:3]
	v_mul_f64 v[2:3], v[2:3], s[2:3]
	v_add_co_u32 v4, vcc_lo, v12, s6
	v_add_co_ci_u32_e32 v5, vcc_lo, s7, v13, vcc_lo
	global_store_b128 v[4:5], v[0:3], off
	scratch_load_b64 v[0:1], off, off offset:936 ; 8-byte Folded Reload
	v_add_co_u32 v4, vcc_lo, v4, s6
	v_add_co_ci_u32_e32 v5, vcc_lo, s7, v5, vcc_lo
	s_waitcnt vmcnt(0)
	global_load_b128 v[0:3], v[0:1], off offset:464
	s_waitcnt vmcnt(0) lgkmcnt(0)
	v_mul_f64 v[6:7], v[10:11], v[2:3]
	v_mul_f64 v[2:3], v[8:9], v[2:3]
	s_delay_alu instid0(VALU_DEP_2) | instskip(NEXT) | instid1(VALU_DEP_2)
	v_fma_f64 v[6:7], v[8:9], v[0:1], v[6:7]
	v_fma_f64 v[2:3], v[0:1], v[10:11], -v[2:3]
	s_delay_alu instid0(VALU_DEP_2) | instskip(NEXT) | instid1(VALU_DEP_2)
	v_mul_f64 v[0:1], v[6:7], s[2:3]
	v_mul_f64 v[2:3], v[2:3], s[2:3]
	global_store_b128 v[4:5], v[0:3], off
.LBB0_15:
	s_nop 0
	s_sendmsg sendmsg(MSG_DEALLOC_VGPRS)
	s_endpgm
	.section	.rodata,"a",@progbits
	.p2align	6, 0x0
	.amdhsa_kernel bluestein_single_back_len1625_dim1_dp_op_CI_CI
		.amdhsa_group_segment_fixed_size 52000
		.amdhsa_private_segment_fixed_size 948
		.amdhsa_kernarg_size 104
		.amdhsa_user_sgpr_count 15
		.amdhsa_user_sgpr_dispatch_ptr 0
		.amdhsa_user_sgpr_queue_ptr 0
		.amdhsa_user_sgpr_kernarg_segment_ptr 1
		.amdhsa_user_sgpr_dispatch_id 0
		.amdhsa_user_sgpr_private_segment_size 0
		.amdhsa_wavefront_size32 1
		.amdhsa_uses_dynamic_stack 0
		.amdhsa_enable_private_segment 1
		.amdhsa_system_sgpr_workgroup_id_x 1
		.amdhsa_system_sgpr_workgroup_id_y 0
		.amdhsa_system_sgpr_workgroup_id_z 0
		.amdhsa_system_sgpr_workgroup_info 0
		.amdhsa_system_vgpr_workitem_id 0
		.amdhsa_next_free_vgpr 256
		.amdhsa_next_free_sgpr 46
		.amdhsa_reserve_vcc 1
		.amdhsa_float_round_mode_32 0
		.amdhsa_float_round_mode_16_64 0
		.amdhsa_float_denorm_mode_32 3
		.amdhsa_float_denorm_mode_16_64 3
		.amdhsa_dx10_clamp 1
		.amdhsa_ieee_mode 1
		.amdhsa_fp16_overflow 0
		.amdhsa_workgroup_processor_mode 1
		.amdhsa_memory_ordered 1
		.amdhsa_forward_progress 0
		.amdhsa_shared_vgpr_count 0
		.amdhsa_exception_fp_ieee_invalid_op 0
		.amdhsa_exception_fp_denorm_src 0
		.amdhsa_exception_fp_ieee_div_zero 0
		.amdhsa_exception_fp_ieee_overflow 0
		.amdhsa_exception_fp_ieee_underflow 0
		.amdhsa_exception_fp_ieee_inexact 0
		.amdhsa_exception_int_div_zero 0
	.end_amdhsa_kernel
	.text
.Lfunc_end0:
	.size	bluestein_single_back_len1625_dim1_dp_op_CI_CI, .Lfunc_end0-bluestein_single_back_len1625_dim1_dp_op_CI_CI
                                        ; -- End function
	.section	.AMDGPU.csdata,"",@progbits
; Kernel info:
; codeLenInByte = 47956
; NumSgprs: 48
; NumVgprs: 256
; ScratchSize: 948
; MemoryBound: 0
; FloatMode: 240
; IeeeMode: 1
; LDSByteSize: 52000 bytes/workgroup (compile time only)
; SGPRBlocks: 5
; VGPRBlocks: 31
; NumSGPRsForWavesPerEU: 48
; NumVGPRsForWavesPerEU: 256
; Occupancy: 3
; WaveLimiterHint : 1
; COMPUTE_PGM_RSRC2:SCRATCH_EN: 1
; COMPUTE_PGM_RSRC2:USER_SGPR: 15
; COMPUTE_PGM_RSRC2:TRAP_HANDLER: 0
; COMPUTE_PGM_RSRC2:TGID_X_EN: 1
; COMPUTE_PGM_RSRC2:TGID_Y_EN: 0
; COMPUTE_PGM_RSRC2:TGID_Z_EN: 0
; COMPUTE_PGM_RSRC2:TIDIG_COMP_CNT: 0
	.text
	.p2alignl 7, 3214868480
	.fill 96, 4, 3214868480
	.type	__hip_cuid_599ca7fae740d21b,@object ; @__hip_cuid_599ca7fae740d21b
	.section	.bss,"aw",@nobits
	.globl	__hip_cuid_599ca7fae740d21b
__hip_cuid_599ca7fae740d21b:
	.byte	0                               ; 0x0
	.size	__hip_cuid_599ca7fae740d21b, 1

	.ident	"AMD clang version 19.0.0git (https://github.com/RadeonOpenCompute/llvm-project roc-6.4.0 25133 c7fe45cf4b819c5991fe208aaa96edf142730f1d)"
	.section	".note.GNU-stack","",@progbits
	.addrsig
	.addrsig_sym __hip_cuid_599ca7fae740d21b
	.amdgpu_metadata
---
amdhsa.kernels:
  - .args:
      - .actual_access:  read_only
        .address_space:  global
        .offset:         0
        .size:           8
        .value_kind:     global_buffer
      - .actual_access:  read_only
        .address_space:  global
        .offset:         8
        .size:           8
        .value_kind:     global_buffer
      - .actual_access:  read_only
        .address_space:  global
        .offset:         16
        .size:           8
        .value_kind:     global_buffer
      - .actual_access:  read_only
        .address_space:  global
        .offset:         24
        .size:           8
        .value_kind:     global_buffer
      - .actual_access:  read_only
        .address_space:  global
        .offset:         32
        .size:           8
        .value_kind:     global_buffer
      - .offset:         40
        .size:           8
        .value_kind:     by_value
      - .address_space:  global
        .offset:         48
        .size:           8
        .value_kind:     global_buffer
      - .address_space:  global
        .offset:         56
        .size:           8
        .value_kind:     global_buffer
      - .address_space:  global
        .offset:         64
        .size:           8
        .value_kind:     global_buffer
      - .address_space:  global
        .offset:         72
        .size:           8
        .value_kind:     global_buffer
      - .offset:         80
        .size:           4
        .value_kind:     by_value
      - .address_space:  global
        .offset:         88
        .size:           8
        .value_kind:     global_buffer
      - .address_space:  global
        .offset:         96
        .size:           8
        .value_kind:     global_buffer
    .group_segment_fixed_size: 52000
    .kernarg_segment_align: 8
    .kernarg_segment_size: 104
    .language:       OpenCL C
    .language_version:
      - 2
      - 0
    .max_flat_workgroup_size: 130
    .name:           bluestein_single_back_len1625_dim1_dp_op_CI_CI
    .private_segment_fixed_size: 948
    .sgpr_count:     48
    .sgpr_spill_count: 0
    .symbol:         bluestein_single_back_len1625_dim1_dp_op_CI_CI.kd
    .uniform_work_group_size: 1
    .uses_dynamic_stack: false
    .vgpr_count:     256
    .vgpr_spill_count: 240
    .wavefront_size: 32
    .workgroup_processor_mode: 1
amdhsa.target:   amdgcn-amd-amdhsa--gfx1100
amdhsa.version:
  - 1
  - 2
...

	.end_amdgpu_metadata
